;; amdgpu-corpus repo=ROCm/rocFFT kind=compiled arch=gfx906 opt=O3
	.text
	.amdgcn_target "amdgcn-amd-amdhsa--gfx906"
	.amdhsa_code_object_version 6
	.protected	bluestein_single_fwd_len2560_dim1_dp_op_CI_CI ; -- Begin function bluestein_single_fwd_len2560_dim1_dp_op_CI_CI
	.globl	bluestein_single_fwd_len2560_dim1_dp_op_CI_CI
	.p2align	8
	.type	bluestein_single_fwd_len2560_dim1_dp_op_CI_CI,@function
bluestein_single_fwd_len2560_dim1_dp_op_CI_CI: ; @bluestein_single_fwd_len2560_dim1_dp_op_CI_CI
; %bb.0:
	s_load_dwordx4 s[16:19], s[4:5], 0x28
	s_mov_b64 s[30:31], s[2:3]
	s_mov_b64 s[28:29], s[0:1]
	s_add_u32 s28, s28, s7
	v_mov_b32_e32 v254, v0
	s_waitcnt lgkmcnt(0)
	v_mov_b32_e32 v0, s16
	v_mov_b32_e32 v1, s17
	s_mov_b32 s7, 0
	v_cmp_lt_u64_e32 vcc, s[6:7], v[0:1]
	s_addc_u32 s29, s29, 0
	s_and_saveexec_b64 s[0:1], vcc
	s_cbranch_execz .LBB0_2
; %bb.1:
	s_load_dwordx4 s[0:3], s[4:5], 0x18
	s_load_dwordx4 s[8:11], s[4:5], 0x0
	v_mov_b32_e32 v2, s6
	v_mov_b32_e32 v4, v2
	;; [unrolled: 1-line block ×3, first 2 shown]
	s_waitcnt lgkmcnt(0)
	s_load_dwordx4 s[12:15], s[0:1], 0x0
	buffer_store_dword v4, off, s[28:31], 0 offset:176 ; 4-byte Folded Spill
	s_nop 0
	buffer_store_dword v5, off, s[28:31], 0 offset:180 ; 4-byte Folded Spill
	v_mov_b32_e32 v7, s19
	s_add_u32 s6, s8, 0xa000
	s_addc_u32 s7, s9, 0
	s_waitcnt lgkmcnt(0)
	v_mad_u64_u32 v[0:1], s[0:1], s14, v2, 0
	v_mad_u64_u32 v[2:3], s[0:1], s12, v254, 0
	v_lshlrev_b32_e32 v206, 4, v254
	v_or_b32_e32 v17, 0x2800, v206
	global_load_dwordx4 v[18:21], v17, s[8:9]
	v_or_b32_e32 v62, 0x5000, v206
	global_load_dwordx4 v[26:29], v62, s[8:9]
	;; [unrolled: 2-line block ×3, first 2 shown]
	s_mul_i32 s14, s13, 0xffff9000
	v_or_b32_e32 v64, 0x8000, v206
	v_or_b32_e32 v97, 0x100, v254
	v_lshlrev_b32_e32 v16, 4, v97
	v_or_b32_e32 v98, 0x180, v254
	v_or_b32_e32 v99, 0x200, v254
	;; [unrolled: 1-line block ×3, first 2 shown]
	v_lshlrev_b32_e32 v223, 6, v254
	s_mov_b32 s19, 0xbfee6f0e
	s_mov_b32 s17, 0xbfe2cf23
	;; [unrolled: 1-line block ×7, first 2 shown]
	s_load_dwordx2 s[4:5], s[4:5], 0x38
	v_mad_u64_u32 v[4:5], s[0:1], s15, v4, v[1:2]
	s_mul_hi_u32 s15, s12, 0xffff9000
	v_mad_u64_u32 v[5:6], s[0:1], s13, v254, v[3:4]
	v_mov_b32_e32 v1, v4
	v_lshlrev_b64 v[0:1], 4, v[0:1]
	v_mov_b32_e32 v3, v5
	v_add_co_u32_e32 v4, vcc, s18, v0
	v_addc_co_u32_e32 v5, vcc, v7, v1, vcc
	v_lshlrev_b64 v[0:1], 4, v[2:3]
	s_mul_i32 s0, s13, 0x2800
	v_add_co_u32_e32 v0, vcc, v4, v0
	s_mul_hi_u32 s1, s12, 0x2800
	v_addc_co_u32_e32 v1, vcc, v5, v1, vcc
	s_add_i32 s0, s1, s0
	s_mul_i32 s1, s12, 0x2800
	global_load_dwordx4 v[81:84], v[0:1], off
	v_mov_b32_e32 v2, s0
	v_add_co_u32_e32 v0, vcc, s1, v0
	v_addc_co_u32_e32 v1, vcc, v1, v2, vcc
	global_load_dwordx4 v[85:88], v[0:1], off
	v_add_co_u32_e32 v0, vcc, s1, v0
	v_addc_co_u32_e32 v1, vcc, v1, v2, vcc
	global_load_dwordx4 v[89:92], v[0:1], off
	v_add_co_u32_e32 v0, vcc, s1, v0
	v_addc_co_u32_e32 v1, vcc, v1, v2, vcc
	global_load_dwordx4 v[22:25], v63, s[8:9]
	global_load_dwordx4 v[93:96], v[0:1], off
	s_mul_i32 s13, s12, 0xffff9000
	s_sub_i32 s12, s15, s12
	v_or_b32_e32 v2, 0x5800, v206
	s_add_i32 s12, s12, s14
	v_or_b32_e32 v3, 0x3000, v206
	global_load_dwordx4 v[42:45], v206, s[8:9] offset:2048
	global_load_dwordx4 v[38:41], v3, s[8:9]
	global_load_dwordx4 v[34:37], v2, s[8:9]
	;; [unrolled: 1-line block ×3, first 2 shown]
	v_mov_b32_e32 v2, s12
	v_add_co_u32_e32 v0, vcc, s13, v0
	v_addc_co_u32_e32 v1, vcc, v1, v2, vcc
	v_mov_b32_e32 v3, s0
	v_add_co_u32_e32 v2, vcc, s1, v0
	v_addc_co_u32_e32 v3, vcc, v1, v3, vcc
	v_mov_b32_e32 v4, s0
	global_load_dwordx4 v[100:103], v[0:1], off
	v_add_co_u32_e32 v0, vcc, s1, v2
	v_addc_co_u32_e32 v1, vcc, v3, v4, vcc
	v_mov_b32_e32 v5, s0
	global_load_dwordx4 v[104:107], v[2:3], off
	;; [unrolled: 4-line block ×3, first 2 shown]
	v_add_co_u32_e32 v0, vcc, s13, v2
	v_addc_co_u32_e32 v1, vcc, v3, v6, vcc
	global_load_dwordx4 v[116:119], v[0:1], off
	global_load_dwordx4 v[46:49], v16, s[8:9]
	v_add_co_u32_e32 v0, vcc, s1, v0
	buffer_store_dword v16, off, s[28:31], 0 offset:184 ; 4-byte Folded Spill
	v_mov_b32_e32 v16, s0
	v_addc_co_u32_e32 v1, vcc, v1, v16, vcc
	v_or_b32_e32 v16, 0x3800, v206
	global_load_dwordx4 v[120:123], v[0:1], off
	global_load_dwordx4 v[50:53], v16, s[8:9]
	v_mov_b32_e32 v16, s0
	v_add_co_u32_e32 v0, vcc, s1, v0
	v_addc_co_u32_e32 v1, vcc, v1, v16, vcc
	v_or_b32_e32 v16, 0x6000, v206
	global_load_dwordx4 v[124:127], v[0:1], off
	global_load_dwordx4 v[54:57], v16, s[8:9]
	v_mov_b32_e32 v16, s0
	v_add_co_u32_e32 v0, vcc, s1, v0
	;; [unrolled: 6-line block ×3, first 2 shown]
	v_addc_co_u32_e32 v1, vcc, v1, v16, vcc
	v_lshlrev_b32_e32 v16, 4, v98
	global_load_dwordx4 v[132:135], v[0:1], off
	global_load_dwordx4 v[231:234], v16, s[8:9]
	v_add_co_u32_e32 v0, vcc, s1, v0
	buffer_store_dword v16, off, s[28:31], 0 offset:188 ; 4-byte Folded Spill
	v_mov_b32_e32 v16, s0
	v_addc_co_u32_e32 v1, vcc, v1, v16, vcc
	v_or_b32_e32 v16, 0x4000, v206
	global_load_dwordx4 v[136:139], v[0:1], off
	global_load_dwordx4 v[224:227], v16, s[8:9]
	v_mov_b32_e32 v16, s0
	v_add_co_u32_e32 v0, vcc, s1, v0
	v_addc_co_u32_e32 v1, vcc, v1, v16, vcc
	v_or_b32_e32 v16, 0x6800, v206
	global_load_dwordx4 v[140:143], v[0:1], off
	global_load_dwordx4 v[211:214], v16, s[8:9]
	v_mov_b32_e32 v16, s0
	v_add_co_u32_e32 v0, vcc, s1, v0
	;; [unrolled: 6-line block ×3, first 2 shown]
	v_addc_co_u32_e32 v1, vcc, v1, v16, vcc
	v_lshlrev_b32_e32 v16, 4, v99
	global_load_dwordx4 v[148:151], v[0:1], off
	global_load_dwordx4 v[65:68], v16, s[8:9]
	v_add_co_u32_e32 v0, vcc, s1, v0
	buffer_store_dword v16, off, s[28:31], 0 offset:192 ; 4-byte Folded Spill
	v_mov_b32_e32 v16, s0
	v_addc_co_u32_e32 v1, vcc, v1, v16, vcc
	v_or_b32_e32 v16, 0x4800, v206
	global_load_dwordx4 v[152:155], v[0:1], off
	global_load_dwordx4 v[69:72], v16, s[8:9]
	v_mov_b32_e32 v16, s0
	v_add_co_u32_e32 v0, vcc, s1, v0
	v_addc_co_u32_e32 v1, vcc, v1, v16, vcc
	v_or_b32_e32 v16, 0x7000, v206
	global_load_dwordx4 v[156:159], v[0:1], off
	global_load_dwordx4 v[73:76], v16, s[8:9]
	v_mov_b32_e32 v16, s0
	v_add_co_u32_e32 v0, vcc, s1, v0
	v_addc_co_u32_e32 v1, vcc, v1, v16, vcc
	global_load_dwordx4 v[160:163], v[0:1], off
	v_or_b32_e32 v0, 0x9800, v206
	global_load_dwordx4 v[112:115], v[2:3], off
	s_waitcnt vmcnt(37)
	v_mul_f64 v[6:7], v[87:88], v[20:21]
	v_mul_f64 v[8:9], v[85:86], v[20:21]
	global_load_dwordx4 v[77:80], v0, s[8:9]
	s_nop 0
	buffer_store_dword v18, off, s[28:31], 0 offset:160 ; 4-byte Folded Spill
	s_nop 0
	buffer_store_dword v19, off, s[28:31], 0 offset:164 ; 4-byte Folded Spill
	buffer_store_dword v20, off, s[28:31], 0 offset:168 ; 4-byte Folded Spill
	;; [unrolled: 1-line block ×3, first 2 shown]
	s_waitcnt vmcnt(41)
	v_mul_f64 v[10:11], v[91:92], v[28:29]
	v_mul_f64 v[12:13], v[89:90], v[28:29]
	buffer_store_dword v26, off, s[28:31], 0 offset:144 ; 4-byte Folded Spill
	s_nop 0
	buffer_store_dword v27, off, s[28:31], 0 offset:148 ; 4-byte Folded Spill
	buffer_store_dword v28, off, s[28:31], 0 offset:152 ; 4-byte Folded Spill
	;; [unrolled: 1-line block ×3, first 2 shown]
	s_waitcnt vmcnt(43)
	v_mul_f64 v[14:15], v[95:96], v[24:25]
	v_mul_f64 v[0:1], v[93:94], v[24:25]
	buffer_store_dword v22, off, s[28:31], 0 offset:112 ; 4-byte Folded Spill
	s_nop 0
	buffer_store_dword v23, off, s[28:31], 0 offset:116 ; 4-byte Folded Spill
	buffer_store_dword v24, off, s[28:31], 0 offset:120 ; 4-byte Folded Spill
	;; [unrolled: 1-line block ×3, first 2 shown]
	v_mul_f64 v[2:3], v[83:84], v[221:222]
	v_mul_f64 v[4:5], v[81:82], v[221:222]
	s_load_dwordx4 s[0:3], s[2:3], 0x0
	v_and_b32_e32 v16, 3, v254
	s_mov_b32 s12, 0x4755a5e
	s_mov_b32 s13, 0x3fe2cf23
	;; [unrolled: 1-line block ×4, first 2 shown]
	v_fma_f64 v[81:82], v[81:82], v[219:220], v[2:3]
	v_fma_f64 v[83:84], v[83:84], v[219:220], -v[4:5]
	s_mov_b32 s15, 0x3fd3c6ef
	s_mov_b32 s22, s14
	v_fma_f64 v[85:86], v[85:86], v[18:19], v[6:7]
	v_fma_f64 v[87:88], v[87:88], v[18:19], -v[8:9]
	v_fma_f64 v[89:90], v[89:90], v[26:27], v[10:11]
	v_fma_f64 v[91:92], v[91:92], v[26:27], -v[12:13]
	;; [unrolled: 2-line block ×3, first 2 shown]
	ds_write_b128 v206, v[81:84]
	ds_write_b128 v206, v[85:88] offset:10240
	ds_write_b128 v206, v[89:92] offset:20480
	;; [unrolled: 1-line block ×3, first 2 shown]
	s_waitcnt vmcnt(46)
	buffer_store_dword v42, off, s[28:31], 0 offset:128 ; 4-byte Folded Spill
	s_nop 0
	buffer_store_dword v43, off, s[28:31], 0 offset:132 ; 4-byte Folded Spill
	buffer_store_dword v44, off, s[28:31], 0 offset:136 ; 4-byte Folded Spill
	buffer_store_dword v45, off, s[28:31], 0 offset:140 ; 4-byte Folded Spill
	s_waitcnt vmcnt(49)
	buffer_store_dword v38, off, s[28:31], 0 offset:96 ; 4-byte Folded Spill
	s_nop 0
	buffer_store_dword v39, off, s[28:31], 0 offset:100 ; 4-byte Folded Spill
	buffer_store_dword v40, off, s[28:31], 0 offset:104 ; 4-byte Folded Spill
	buffer_store_dword v41, off, s[28:31], 0 offset:108 ; 4-byte Folded Spill
	;; [unrolled: 6-line block ×7, first 2 shown]
	s_waitcnt vmcnt(59)
	buffer_store_dword v58, off, s[28:31], 0 ; 4-byte Folded Spill
	s_nop 0
	buffer_store_dword v59, off, s[28:31], 0 offset:4 ; 4-byte Folded Spill
	buffer_store_dword v60, off, s[28:31], 0 offset:8 ; 4-byte Folded Spill
	;; [unrolled: 1-line block ×3, first 2 shown]
	v_mul_f64 v[0:1], v[102:103], v[44:45]
	v_mul_f64 v[2:3], v[100:101], v[44:45]
	;; [unrolled: 1-line block ×6, first 2 shown]
	s_waitcnt vmcnt(45)
	v_mul_f64 v[12:13], v[114:115], v[32:33]
	v_mul_f64 v[14:15], v[112:113], v[32:33]
	v_fma_f64 v[81:82], v[100:101], v[42:43], v[0:1]
	v_fma_f64 v[83:84], v[102:103], v[42:43], -v[2:3]
	v_mul_f64 v[0:1], v[118:119], v[48:49]
	v_mul_f64 v[2:3], v[116:117], v[48:49]
	v_fma_f64 v[85:86], v[104:105], v[38:39], v[4:5]
	v_fma_f64 v[87:88], v[106:107], v[38:39], -v[6:7]
	v_mul_f64 v[4:5], v[122:123], v[52:53]
	v_mul_f64 v[6:7], v[120:121], v[52:53]
	v_fma_f64 v[89:90], v[108:109], v[34:35], v[8:9]
	v_fma_f64 v[91:92], v[110:111], v[34:35], -v[10:11]
	v_mul_f64 v[8:9], v[126:127], v[56:57]
	v_mul_f64 v[10:11], v[124:125], v[56:57]
	v_fma_f64 v[93:94], v[112:113], v[30:31], v[12:13]
	v_fma_f64 v[95:96], v[114:115], v[30:31], -v[14:15]
	v_mul_f64 v[12:13], v[130:131], v[60:61]
	v_mul_f64 v[14:15], v[128:129], v[60:61]
	v_fma_f64 v[100:101], v[116:117], v[46:47], v[0:1]
	v_fma_f64 v[102:103], v[118:119], v[46:47], -v[2:3]
	v_mul_f64 v[0:1], v[134:135], v[233:234]
	v_mul_f64 v[2:3], v[132:133], v[233:234]
	v_fma_f64 v[104:105], v[120:121], v[50:51], v[4:5]
	v_fma_f64 v[106:107], v[122:123], v[50:51], -v[6:7]
	v_mul_f64 v[4:5], v[138:139], v[226:227]
	v_mul_f64 v[6:7], v[136:137], v[226:227]
	v_fma_f64 v[108:109], v[124:125], v[54:55], v[8:9]
	v_fma_f64 v[110:111], v[126:127], v[54:55], -v[10:11]
	v_mul_f64 v[8:9], v[142:143], v[213:214]
	v_mul_f64 v[10:11], v[140:141], v[213:214]
	v_fma_f64 v[112:113], v[128:129], v[58:59], v[12:13]
	v_fma_f64 v[114:115], v[130:131], v[58:59], -v[14:15]
	v_mul_f64 v[12:13], v[146:147], v[217:218]
	v_mul_f64 v[14:15], v[144:145], v[217:218]
	ds_write_b128 v206, v[81:84] offset:2048
	ds_write_b128 v206, v[85:88] offset:12288
	;; [unrolled: 1-line block ×8, first 2 shown]
	v_fma_f64 v[81:82], v[132:133], v[231:232], v[0:1]
	v_fma_f64 v[83:84], v[134:135], v[231:232], -v[2:3]
	v_mul_f64 v[0:1], v[150:151], v[67:68]
	v_mul_f64 v[2:3], v[148:149], v[67:68]
	v_fma_f64 v[85:86], v[136:137], v[224:225], v[4:5]
	v_fma_f64 v[87:88], v[138:139], v[224:225], -v[6:7]
	v_mul_f64 v[4:5], v[154:155], v[71:72]
	v_mul_f64 v[6:7], v[152:153], v[71:72]
	;; [unrolled: 4-line block ×3, first 2 shown]
	v_fma_f64 v[93:94], v[144:145], v[215:216], v[12:13]
	v_fma_f64 v[95:96], v[146:147], v[215:216], -v[14:15]
	s_waitcnt vmcnt(44)
	v_mul_f64 v[12:13], v[162:163], v[79:80]
	v_mul_f64 v[14:15], v[160:161], v[79:80]
	v_fma_f64 v[100:101], v[148:149], v[65:66], v[0:1]
	v_fma_f64 v[102:103], v[150:151], v[65:66], -v[2:3]
	v_fma_f64 v[104:105], v[152:153], v[69:70], v[4:5]
	v_fma_f64 v[106:107], v[154:155], v[69:70], -v[6:7]
	;; [unrolled: 2-line block ×4, first 2 shown]
	ds_write_b128 v206, v[81:84] offset:6144
	ds_write_b128 v206, v[85:88] offset:16384
	;; [unrolled: 1-line block ×8, first 2 shown]
	s_waitcnt vmcnt(0) lgkmcnt(0)
	s_barrier
	ds_read_b128 v[81:84], v206
	ds_read_b128 v[85:88], v206 offset:20480
	ds_read_b128 v[89:92], v206 offset:30720
	;; [unrolled: 1-line block ×4, first 2 shown]
	s_waitcnt lgkmcnt(3)
	v_add_f64 v[0:1], v[81:82], -v[85:86]
	v_add_f64 v[2:3], v[83:84], -v[87:88]
	s_waitcnt lgkmcnt(1)
	v_add_f64 v[4:5], v[93:94], -v[89:90]
	v_add_f64 v[6:7], v[95:96], -v[91:92]
	ds_read_b128 v[85:88], v206 offset:22528
	ds_read_b128 v[89:92], v206 offset:8192
	;; [unrolled: 1-line block ×3, first 2 shown]
	v_fma_f64 v[8:9], v[81:82], 2.0, -v[0:1]
	v_fma_f64 v[10:11], v[83:84], 2.0, -v[2:3]
	;; [unrolled: 1-line block ×4, first 2 shown]
	ds_read_b128 v[81:84], v206 offset:12288
	ds_read_b128 v[93:96], v206 offset:14336
	ds_read_b128 v[108:111], v206 offset:32768
	ds_read_b128 v[112:115], v206 offset:34816
	ds_read_b128 v[116:119], v206 offset:4096
	ds_read_b128 v[120:123], v206 offset:6144
	ds_read_b128 v[128:131], v206 offset:24576
	ds_read_b128 v[132:135], v206 offset:26624
	ds_read_b128 v[136:139], v206 offset:16384
	ds_read_b128 v[140:143], v206 offset:18432
	ds_read_b128 v[144:147], v206 offset:36864
	ds_read_b128 v[148:151], v206 offset:38912
	s_waitcnt lgkmcnt(0)
	v_add_f64 v[22:23], v[93:94], -v[112:113]
	v_add_f64 v[18:19], v[116:117], -v[128:129]
	;; [unrolled: 1-line block ×8, first 2 shown]
	v_fma_f64 v[38:39], v[93:94], 2.0, -v[22:23]
	v_fma_f64 v[34:35], v[116:117], 2.0, -v[18:19]
	;; [unrolled: 1-line block ×5, first 2 shown]
	v_add_f64 v[8:9], v[100:101], -v[85:86]
	v_add_f64 v[10:11], v[102:103], -v[87:88]
	v_fma_f64 v[30:31], v[81:82], 2.0, -v[12:13]
	v_fma_f64 v[32:33], v[83:84], 2.0, -v[14:15]
	v_add_f64 v[81:82], v[0:1], -v[6:7]
	v_add_f64 v[83:84], v[2:3], v[4:5]
	v_fma_f64 v[40:41], v[95:96], 2.0, -v[24:25]
	v_add_f64 v[4:5], v[136:137], -v[144:145]
	v_fma_f64 v[26:27], v[100:101], 2.0, -v[8:9]
	v_fma_f64 v[28:29], v[102:103], 2.0, -v[10:11]
	v_add_f64 v[93:94], v[8:9], -v[14:15]
	v_add_f64 v[95:96], v[10:11], v[12:13]
	v_fma_f64 v[108:109], v[0:1], 2.0, -v[81:82]
	v_fma_f64 v[110:111], v[2:3], 2.0, -v[83:84]
	v_add_f64 v[0:1], v[120:121], -v[132:133]
	v_add_f64 v[2:3], v[122:123], -v[134:135]
	v_add_f64 v[85:86], v[26:27], -v[30:31]
	v_add_f64 v[87:88], v[28:29], -v[32:33]
	v_add_f64 v[6:7], v[138:139], -v[146:147]
	v_add_f64 v[100:101], v[34:35], -v[38:39]
	v_add_f64 v[102:103], v[36:37], -v[40:41]
	v_fma_f64 v[116:117], v[8:9], 2.0, -v[93:94]
	v_fma_f64 v[118:119], v[10:11], 2.0, -v[95:96]
	v_add_f64 v[8:9], v[89:90], -v[104:105]
	v_add_f64 v[10:11], v[91:92], -v[106:107]
	;; [unrolled: 1-line block ×4, first 2 shown]
	v_fma_f64 v[112:113], v[26:27], 2.0, -v[85:86]
	v_fma_f64 v[114:115], v[28:29], 2.0, -v[87:88]
	v_add_f64 v[156:157], v[18:19], -v[24:25]
	v_add_f64 v[158:159], v[20:21], v[22:23]
	v_fma_f64 v[22:23], v[120:121], 2.0, -v[0:1]
	v_fma_f64 v[24:25], v[122:123], 2.0, -v[2:3]
	;; [unrolled: 1-line block ×10, first 2 shown]
	v_add_f64 v[104:105], v[22:23], -v[26:27]
	v_add_f64 v[106:107], v[24:25], -v[28:29]
	;; [unrolled: 1-line block ×3, first 2 shown]
	v_add_f64 v[122:123], v[2:3], v[4:5]
	v_add_f64 v[136:137], v[8:9], -v[14:15]
	v_add_f64 v[138:139], v[10:11], v[12:13]
	v_add_f64 v[132:133], v[30:31], -v[34:35]
	v_add_f64 v[134:135], v[32:33], -v[36:37]
	v_fma_f64 v[89:90], v[18:19], 2.0, -v[156:157]
	v_fma_f64 v[91:92], v[20:21], 2.0, -v[158:159]
	v_fma_f64 v[140:141], v[22:23], 2.0, -v[104:105]
	v_fma_f64 v[142:143], v[24:25], 2.0, -v[106:107]
	v_fma_f64 v[144:145], v[0:1], 2.0, -v[120:121]
	v_fma_f64 v[146:147], v[2:3], 2.0, -v[122:123]
	v_fma_f64 v[148:149], v[30:31], 2.0, -v[132:133]
	v_fma_f64 v[150:151], v[32:33], 2.0, -v[134:135]
	v_fma_f64 v[160:161], v[8:9], 2.0, -v[136:137]
	v_fma_f64 v[162:163], v[10:11], 2.0, -v[138:139]
	v_lshlrev_b32_e32 v0, 6, v230
	s_barrier
	ds_write_b128 v223, v[152:155]
	ds_write_b128 v223, v[108:111] offset:16
	ds_write_b128 v223, v[124:127] offset:32
	;; [unrolled: 1-line block ×3, first 2 shown]
	buffer_store_dword v0, off, s[28:31], 0 offset:224 ; 4-byte Folded Spill
	ds_write_b128 v223, v[112:115] offset:8192
	ds_write_b128 v0, v[116:119] offset:16
	ds_write_b128 v0, v[85:88] offset:32
	ds_write_b128 v0, v[93:96] offset:48
	v_lshlrev_b32_e32 v0, 6, v97
	buffer_store_dword v0, off, s[28:31], 0 offset:220 ; 4-byte Folded Spill
	ds_write_b128 v223, v[128:131] offset:16384
	ds_write_b128 v0, v[89:92] offset:16
	ds_write_b128 v0, v[100:103] offset:32
	ds_write_b128 v0, v[156:159] offset:48
	v_lshlrev_b32_e32 v0, 6, v98
	;; [unrolled: 6-line block ×3, first 2 shown]
	buffer_store_dword v0, off, s[28:31], 0 offset:208 ; 4-byte Folded Spill
	ds_write_b128 v223, v[148:151] offset:32768
	ds_write_b128 v0, v[160:163] offset:16
	;; [unrolled: 1-line block ×4, first 2 shown]
	v_mad_u64_u32 v[0:1], s[8:9], v16, 48, s[10:11]
	s_waitcnt vmcnt(0) lgkmcnt(0)
	s_barrier
	global_load_dwordx4 v[137:140], v[0:1], off
	global_load_dwordx4 v[133:136], v[0:1], off offset:16
	global_load_dwordx4 v[121:124], v[0:1], off offset:32
	v_lshlrev_b32_e32 v85, 2, v97
	v_lshlrev_b32_e32 v84, 2, v98
	;; [unrolled: 1-line block ×3, first 2 shown]
	ds_read_b128 v[88:91], v206 offset:10240
	ds_read_b128 v[92:95], v206
	ds_read_b128 v[96:99], v206 offset:2048
	ds_read_b128 v[100:103], v206 offset:20480
	;; [unrolled: 1-line block ×18, first 2 shown]
	v_lshlrev_b32_e32 v87, 2, v254
	s_movk_i32 s8, 0x1f0
	v_lshlrev_b32_e32 v86, 2, v230
	s_waitcnt vmcnt(0) lgkmcnt(0)
	s_barrier
	v_mul_f64 v[0:1], v[90:91], v[139:140]
	v_mul_f64 v[2:3], v[88:89], v[139:140]
	;; [unrolled: 1-line block ×8, first 2 shown]
	v_fma_f64 v[0:1], v[88:89], v[137:138], -v[0:1]
	v_fma_f64 v[2:3], v[90:91], v[137:138], v[2:3]
	v_fma_f64 v[4:5], v[100:101], v[133:134], -v[4:5]
	v_fma_f64 v[6:7], v[102:103], v[133:134], v[6:7]
	;; [unrolled: 2-line block ×3, first 2 shown]
	v_mul_f64 v[18:19], v[106:107], v[135:136]
	v_mul_f64 v[20:21], v[104:105], v[135:136]
	;; [unrolled: 1-line block ×4, first 2 shown]
	v_add_f64 v[4:5], v[92:93], -v[4:5]
	v_add_f64 v[6:7], v[94:95], -v[6:7]
	;; [unrolled: 1-line block ×4, first 2 shown]
	v_fma_f64 v[12:13], v[108:109], v[137:138], -v[12:13]
	v_fma_f64 v[14:15], v[110:111], v[137:138], v[14:15]
	v_fma_f64 v[18:19], v[104:105], v[133:134], -v[18:19]
	v_fma_f64 v[20:21], v[106:107], v[133:134], v[20:21]
	;; [unrolled: 2-line block ×3, first 2 shown]
	v_mul_f64 v[26:27], v[114:115], v[139:140]
	v_mul_f64 v[28:29], v[112:113], v[139:140]
	;; [unrolled: 1-line block ×6, first 2 shown]
	v_fma_f64 v[50:51], v[92:93], 2.0, -v[4:5]
	v_fma_f64 v[52:53], v[94:95], 2.0, -v[6:7]
	v_fma_f64 v[0:1], v[0:1], 2.0, -v[8:9]
	v_fma_f64 v[2:3], v[2:3], 2.0, -v[10:11]
	v_mul_f64 v[38:39], v[159:160], v[139:140]
	v_mul_f64 v[40:41], v[157:158], v[139:140]
	v_fma_f64 v[26:27], v[112:113], v[137:138], -v[26:27]
	v_fma_f64 v[28:29], v[114:115], v[137:138], v[28:29]
	v_fma_f64 v[30:31], v[145:146], v[133:134], -v[30:31]
	v_fma_f64 v[32:33], v[147:148], v[133:134], v[32:33]
	;; [unrolled: 2-line block ×3, first 2 shown]
	v_mul_f64 v[42:43], v[151:152], v[135:136]
	v_mul_f64 v[44:45], v[149:150], v[135:136]
	;; [unrolled: 1-line block ×10, first 2 shown]
	v_add_f64 v[88:89], v[50:51], -v[0:1]
	v_add_f64 v[90:91], v[52:53], -v[2:3]
	v_add_f64 v[18:19], v[96:97], -v[18:19]
	v_add_f64 v[20:21], v[98:99], -v[20:21]
	v_add_f64 v[22:23], v[12:13], -v[22:23]
	v_add_f64 v[24:25], v[14:15], -v[24:25]
	v_fma_f64 v[38:39], v[157:158], v[137:138], -v[38:39]
	v_fma_f64 v[40:41], v[159:160], v[137:138], v[40:41]
	v_fma_f64 v[42:43], v[149:150], v[133:134], -v[42:43]
	v_fma_f64 v[44:45], v[151:152], v[133:134], v[44:45]
	;; [unrolled: 2-line block ×6, first 2 shown]
	v_fma_f64 v[92:93], v[50:51], 2.0, -v[88:89]
	v_fma_f64 v[94:95], v[52:53], 2.0, -v[90:91]
	v_add_f64 v[30:31], v[129:130], -v[30:31]
	v_add_f64 v[32:33], v[131:132], -v[32:33]
	;; [unrolled: 1-line block ×4, first 2 shown]
	v_fma_f64 v[50:51], v[96:97], 2.0, -v[18:19]
	v_fma_f64 v[52:53], v[98:99], 2.0, -v[20:21]
	v_fma_f64 v[12:13], v[12:13], 2.0, -v[22:23]
	v_fma_f64 v[14:15], v[14:15], 2.0, -v[24:25]
	v_add_f64 v[96:97], v[4:5], -v[10:11]
	v_add_f64 v[98:99], v[6:7], v[8:9]
	v_add_f64 v[104:105], v[18:19], -v[24:25]
	v_add_f64 v[106:107], v[20:21], v[22:23]
	v_fma_f64 v[129:130], v[129:130], 2.0, -v[30:31]
	v_fma_f64 v[131:132], v[131:132], 2.0, -v[32:33]
	;; [unrolled: 1-line block ×4, first 2 shown]
	v_add_f64 v[100:101], v[50:51], -v[12:13]
	v_add_f64 v[102:103], v[52:53], -v[14:15]
	v_fma_f64 v[112:113], v[4:5], 2.0, -v[96:97]
	v_fma_f64 v[114:115], v[6:7], 2.0, -v[98:99]
	;; [unrolled: 1-line block ×4, first 2 shown]
	v_add_f64 v[4:5], v[141:142], -v[42:43]
	v_add_f64 v[6:7], v[143:144], -v[44:45]
	;; [unrolled: 1-line block ×11, first 2 shown]
	v_add_f64 v[147:148], v[32:33], v[34:35]
	v_fma_f64 v[22:23], v[141:142], 2.0, -v[4:5]
	v_fma_f64 v[24:25], v[143:144], 2.0, -v[6:7]
	;; [unrolled: 1-line block ×10, first 2 shown]
	v_add_f64 v[149:150], v[22:23], -v[26:27]
	v_add_f64 v[151:152], v[24:25], -v[28:29]
	;; [unrolled: 1-line block ×3, first 2 shown]
	v_add_f64 v[155:156], v[6:7], v[8:9]
	v_add_f64 v[157:158], v[34:35], -v[0:1]
	v_add_f64 v[159:160], v[36:37], -v[2:3]
	;; [unrolled: 1-line block ×3, first 2 shown]
	v_add_f64 v[163:164], v[14:15], v[18:19]
	v_and_or_b32 v0, v87, s8, v16
	s_movk_i32 s8, 0x3f0
	v_lshlrev_b32_e32 v239, 4, v0
	v_and_or_b32 v0, v86, s8, v16
	v_fma_f64 v[129:130], v[129:130], 2.0, -v[108:109]
	v_fma_f64 v[131:132], v[131:132], 2.0, -v[110:111]
	;; [unrolled: 1-line block ×6, first 2 shown]
	v_lshlrev_b32_e32 v0, 4, v0
	s_movk_i32 s8, 0x5f0
	v_fma_f64 v[141:142], v[30:31], 2.0, -v[145:146]
	v_fma_f64 v[143:144], v[32:33], 2.0, -v[147:148]
	;; [unrolled: 1-line block ×6, first 2 shown]
	ds_write_b128 v239, v[92:95]
	ds_write_b128 v239, v[112:115] offset:64
	ds_write_b128 v239, v[88:91] offset:128
	;; [unrolled: 1-line block ×3, first 2 shown]
	buffer_store_dword v0, off, s[28:31], 0 offset:216 ; 4-byte Folded Spill
	ds_write_b128 v0, v[116:119]
	ds_write_b128 v0, v[125:128] offset:64
	ds_write_b128 v0, v[100:103] offset:128
	;; [unrolled: 1-line block ×3, first 2 shown]
	v_and_or_b32 v0, v85, s8, v16
	s_movk_i32 s8, 0x7f0
	v_lshlrev_b32_e32 v240, 4, v0
	v_and_or_b32 v0, v84, s8, v16
	s_movk_i32 s8, 0x9f0
	v_lshlrev_b32_e32 v241, 4, v0
	v_and_or_b32 v0, v83, s8, v16
	v_and_b32_e32 v16, 15, v254
	v_lshlrev_b32_e32 v205, 4, v0
	v_mad_u64_u32 v[0:1], s[8:9], v16, 48, s[10:11]
	ds_write_b128 v240, v[129:132]
	ds_write_b128 v240, v[141:144] offset:64
	ds_write_b128 v240, v[108:111] offset:128
	ds_write_b128 v240, v[145:148] offset:192
	ds_write_b128 v241, v[165:168]
	ds_write_b128 v241, v[169:172] offset:64
	ds_write_b128 v241, v[149:152] offset:128
	ds_write_b128 v241, v[153:156] offset:192
	;; [unrolled: 4-line block ×3, first 2 shown]
	s_waitcnt vmcnt(0) lgkmcnt(0)
	s_barrier
	global_load_dwordx4 v[129:132], v[0:1], off offset:192
	global_load_dwordx4 v[125:128], v[0:1], off offset:208
	;; [unrolled: 1-line block ×3, first 2 shown]
	ds_read_b128 v[88:91], v206 offset:10240
	ds_read_b128 v[92:95], v206
	ds_read_b128 v[96:99], v206 offset:2048
	ds_read_b128 v[100:103], v206 offset:20480
	;; [unrolled: 1-line block ×18, first 2 shown]
	s_movk_i32 s8, 0x1c0
	s_waitcnt vmcnt(0) lgkmcnt(0)
	s_barrier
	v_mov_b32_e32 v82, s11
	v_mov_b32_e32 v81, s10
	v_mul_f64 v[0:1], v[90:91], v[131:132]
	v_mul_f64 v[2:3], v[88:89], v[131:132]
	;; [unrolled: 1-line block ×8, first 2 shown]
	v_fma_f64 v[0:1], v[88:89], v[129:130], -v[0:1]
	v_fma_f64 v[2:3], v[90:91], v[129:130], v[2:3]
	v_fma_f64 v[4:5], v[100:101], v[125:126], -v[4:5]
	v_fma_f64 v[6:7], v[102:103], v[125:126], v[6:7]
	;; [unrolled: 2-line block ×3, first 2 shown]
	v_mul_f64 v[18:19], v[106:107], v[127:128]
	v_mul_f64 v[20:21], v[104:105], v[127:128]
	;; [unrolled: 1-line block ×4, first 2 shown]
	v_add_f64 v[4:5], v[92:93], -v[4:5]
	v_add_f64 v[6:7], v[94:95], -v[6:7]
	;; [unrolled: 1-line block ×4, first 2 shown]
	v_fma_f64 v[12:13], v[108:109], v[129:130], -v[12:13]
	v_fma_f64 v[14:15], v[110:111], v[129:130], v[14:15]
	v_fma_f64 v[18:19], v[104:105], v[125:126], -v[18:19]
	v_fma_f64 v[20:21], v[106:107], v[125:126], v[20:21]
	;; [unrolled: 2-line block ×3, first 2 shown]
	v_mul_f64 v[26:27], v[119:120], v[131:132]
	v_mul_f64 v[28:29], v[117:118], v[131:132]
	;; [unrolled: 1-line block ×6, first 2 shown]
	v_fma_f64 v[50:51], v[92:93], 2.0, -v[4:5]
	v_fma_f64 v[52:53], v[94:95], 2.0, -v[6:7]
	;; [unrolled: 1-line block ×4, first 2 shown]
	v_mul_f64 v[38:39], v[171:172], v[131:132]
	v_mul_f64 v[40:41], v[169:170], v[131:132]
	v_fma_f64 v[26:27], v[117:118], v[129:130], -v[26:27]
	v_fma_f64 v[28:29], v[119:120], v[129:130], v[28:29]
	v_fma_f64 v[30:31], v[157:158], v[125:126], -v[30:31]
	v_fma_f64 v[32:33], v[159:160], v[125:126], v[32:33]
	;; [unrolled: 2-line block ×3, first 2 shown]
	v_mul_f64 v[42:43], v[163:164], v[127:128]
	v_mul_f64 v[44:45], v[161:162], v[127:128]
	;; [unrolled: 1-line block ×10, first 2 shown]
	v_add_f64 v[88:89], v[50:51], -v[0:1]
	v_add_f64 v[90:91], v[52:53], -v[2:3]
	v_add_f64 v[18:19], v[96:97], -v[18:19]
	v_add_f64 v[20:21], v[98:99], -v[20:21]
	v_add_f64 v[22:23], v[12:13], -v[22:23]
	v_add_f64 v[24:25], v[14:15], -v[24:25]
	v_fma_f64 v[38:39], v[169:170], v[129:130], -v[38:39]
	v_fma_f64 v[40:41], v[171:172], v[129:130], v[40:41]
	v_fma_f64 v[42:43], v[161:162], v[125:126], -v[42:43]
	v_fma_f64 v[44:45], v[163:164], v[125:126], v[44:45]
	;; [unrolled: 2-line block ×6, first 2 shown]
	v_fma_f64 v[92:93], v[50:51], 2.0, -v[88:89]
	v_fma_f64 v[94:95], v[52:53], 2.0, -v[90:91]
	v_add_f64 v[30:31], v[149:150], -v[30:31]
	v_add_f64 v[32:33], v[151:152], -v[32:33]
	;; [unrolled: 1-line block ×4, first 2 shown]
	v_fma_f64 v[50:51], v[96:97], 2.0, -v[18:19]
	v_fma_f64 v[52:53], v[98:99], 2.0, -v[20:21]
	;; [unrolled: 1-line block ×4, first 2 shown]
	v_add_f64 v[96:97], v[4:5], -v[10:11]
	v_add_f64 v[98:99], v[6:7], v[8:9]
	v_add_f64 v[104:105], v[18:19], -v[24:25]
	v_add_f64 v[106:107], v[20:21], v[22:23]
	v_fma_f64 v[149:150], v[149:150], 2.0, -v[30:31]
	v_fma_f64 v[151:152], v[151:152], 2.0, -v[32:33]
	;; [unrolled: 1-line block ×4, first 2 shown]
	v_add_f64 v[100:101], v[50:51], -v[12:13]
	v_add_f64 v[102:103], v[52:53], -v[14:15]
	v_fma_f64 v[117:118], v[4:5], 2.0, -v[96:97]
	v_fma_f64 v[119:120], v[6:7], 2.0, -v[98:99]
	;; [unrolled: 1-line block ×4, first 2 shown]
	v_add_f64 v[4:5], v[153:154], -v[42:43]
	v_add_f64 v[6:7], v[155:156], -v[44:45]
	;; [unrolled: 1-line block ×11, first 2 shown]
	v_add_f64 v[159:160], v[32:33], v[34:35]
	v_fma_f64 v[22:23], v[153:154], 2.0, -v[4:5]
	v_fma_f64 v[24:25], v[155:156], 2.0, -v[6:7]
	;; [unrolled: 1-line block ×8, first 2 shown]
	v_add_f64 v[165:166], v[4:5], -v[10:11]
	v_add_f64 v[167:168], v[6:7], v[8:9]
	v_add_f64 v[161:162], v[22:23], -v[26:27]
	v_add_f64 v[163:164], v[24:25], -v[28:29]
	;; [unrolled: 1-line block ×3, first 2 shown]
	v_add_f64 v[175:176], v[14:15], v[18:19]
	v_add_f64 v[169:170], v[34:35], -v[0:1]
	v_add_f64 v[171:172], v[36:37], -v[2:3]
	v_fma_f64 v[141:142], v[50:51], 2.0, -v[100:101]
	v_fma_f64 v[143:144], v[52:53], 2.0, -v[102:103]
	;; [unrolled: 1-line block ×10, first 2 shown]
	v_and_or_b32 v0, v87, s8, v16
	s_movk_i32 s8, 0x3c0
	v_fma_f64 v[181:182], v[4:5], 2.0, -v[165:166]
	v_fma_f64 v[183:184], v[6:7], 2.0, -v[167:168]
	;; [unrolled: 1-line block ×4, first 2 shown]
	v_lshlrev_b32_e32 v229, 4, v0
	v_and_or_b32 v0, v86, s8, v16
	v_lshlrev_b32_e32 v0, 4, v0
	s_movk_i32 s8, 0x5c0
	ds_write_b128 v229, v[92:95]
	ds_write_b128 v229, v[117:120] offset:256
	ds_write_b128 v229, v[88:91] offset:512
	ds_write_b128 v229, v[96:99] offset:768
	buffer_store_dword v0, off, s[28:31], 0 offset:204 ; 4-byte Folded Spill
	ds_write_b128 v0, v[141:144]
	ds_write_b128 v0, v[145:148] offset:256
	ds_write_b128 v0, v[100:103] offset:512
	;; [unrolled: 1-line block ×3, first 2 shown]
	v_and_or_b32 v0, v85, s8, v16
	v_lshlrev_b32_e32 v0, 4, v0
	s_movk_i32 s8, 0x7c0
	buffer_store_dword v0, off, s[28:31], 0 offset:196 ; 4-byte Folded Spill
	ds_write_b128 v0, v[149:152]
	ds_write_b128 v0, v[153:156] offset:256
	ds_write_b128 v0, v[108:111] offset:512
	;; [unrolled: 1-line block ×3, first 2 shown]
	v_and_or_b32 v0, v84, s8, v16
	s_movk_i32 s8, 0x9c0
	v_lshlrev_b32_e32 v255, 4, v0
	v_and_or_b32 v0, v83, s8, v16
	v_lshlrev_b32_e32 v0, 4, v0
	v_and_b32_e32 v16, 63, v254
	s_movk_i32 s8, 0x90
	ds_write_b128 v255, v[177:180]
	ds_write_b128 v255, v[181:184] offset:256
	ds_write_b128 v255, v[161:164] offset:512
	;; [unrolled: 1-line block ×3, first 2 shown]
	buffer_store_dword v0, off, s[28:31], 0 offset:200 ; 4-byte Folded Spill
	ds_write_b128 v0, v[186:189]
	ds_write_b128 v0, v[190:193] offset:256
	ds_write_b128 v0, v[169:172] offset:512
	;; [unrolled: 1-line block ×3, first 2 shown]
	v_mad_u64_u32 v[0:1], s[8:9], v16, s8, v[81:82]
	s_waitcnt vmcnt(0) lgkmcnt(0)
	s_barrier
	global_load_dwordx4 v[117:120], v[0:1], off offset:960
	global_load_dwordx4 v[105:108], v[0:1], off offset:976
	;; [unrolled: 1-line block ×9, first 2 shown]
	ds_read_b128 v[141:144], v206 offset:4096
	ds_read_b128 v[145:148], v206 offset:6144
	;; [unrolled: 1-line block ×11, first 2 shown]
	s_mov_b32 s8, 0x134454ff
	s_mov_b32 s9, 0x3fee6f0e
	;; [unrolled: 1-line block ×3, first 2 shown]
	s_waitcnt vmcnt(8) lgkmcnt(10)
	v_mul_f64 v[0:1], v[143:144], v[119:120]
	v_mul_f64 v[2:3], v[141:142], v[119:120]
	s_waitcnt vmcnt(7) lgkmcnt(8)
	v_mul_f64 v[4:5], v[151:152], v[107:108]
	v_mul_f64 v[6:7], v[149:150], v[107:108]
	;; [unrolled: 1-line block ×4, first 2 shown]
	s_waitcnt vmcnt(6) lgkmcnt(6)
	v_mul_f64 v[10:11], v[157:158], v[103:104]
	v_mul_f64 v[8:9], v[159:160], v[103:104]
	v_fma_f64 v[0:1], v[141:142], v[117:118], -v[0:1]
	v_fma_f64 v[2:3], v[143:144], v[117:118], v[2:3]
	ds_read_b128 v[141:144], v206 offset:32768
	v_fma_f64 v[4:5], v[149:150], v[105:106], -v[4:5]
	v_fma_f64 v[6:7], v[151:152], v[105:106], v[6:7]
	ds_read_b128 v[149:152], v206 offset:36864
	v_fma_f64 v[203:204], v[145:146], v[117:118], -v[40:41]
	s_waitcnt vmcnt(1) lgkmcnt(1)
	v_mul_f64 v[32:33], v[143:144], v[83:84]
	v_mul_f64 v[34:35], v[141:142], v[83:84]
	v_mul_f64 v[40:41], v[163:164], v[103:104]
	v_mul_f64 v[44:45], v[155:156], v[107:108]
	v_mul_f64 v[46:47], v[153:154], v[107:108]
	v_fma_f64 v[185:186], v[147:148], v[117:118], v[42:43]
	v_mul_f64 v[42:43], v[161:162], v[103:104]
	v_mul_f64 v[14:15], v[167:168], v[87:88]
	v_fma_f64 v[32:33], v[141:142], v[81:82], -v[32:33]
	v_fma_f64 v[34:35], v[143:144], v[81:82], v[34:35]
	ds_read_b128 v[141:144], v206 offset:22528
	ds_read_b128 v[145:148], v206 offset:26624
	v_fma_f64 v[10:11], v[159:160], v[101:102], v[10:11]
	v_fma_f64 v[159:160], v[161:162], v[101:102], -v[40:41]
	v_fma_f64 v[8:9], v[157:158], v[101:102], -v[8:9]
	s_waitcnt lgkmcnt(1)
	v_mul_f64 v[40:41], v[143:144], v[111:112]
	v_fma_f64 v[157:158], v[153:154], v[105:106], -v[44:45]
	v_fma_f64 v[153:154], v[155:156], v[105:106], v[46:47]
	v_fma_f64 v[155:156], v[163:164], v[101:102], v[42:43]
	v_mul_f64 v[42:43], v[141:142], v[111:112]
	v_mul_f64 v[18:19], v[165:166], v[87:88]
	;; [unrolled: 1-line block ×3, first 2 shown]
	v_fma_f64 v[14:15], v[165:166], v[85:86], -v[14:15]
	v_fma_f64 v[165:166], v[141:142], v[109:110], -v[40:41]
	s_waitcnt lgkmcnt(0)
	v_mul_f64 v[40:41], v[147:148], v[99:100]
	v_mul_f64 v[20:21], v[175:176], v[111:112]
	;; [unrolled: 1-line block ×3, first 2 shown]
	v_fma_f64 v[161:162], v[143:144], v[109:110], v[42:43]
	ds_read_b128 v[141:144], v206 offset:30720
	v_fma_f64 v[22:23], v[175:176], v[109:110], v[22:23]
	v_fma_f64 v[18:19], v[167:168], v[85:86], v[18:19]
	v_mul_f64 v[46:47], v[169:170], v[87:88]
	v_fma_f64 v[175:176], v[145:146], v[97:98], -v[40:41]
	s_waitcnt lgkmcnt(0)
	v_mul_f64 v[40:41], v[143:144], v[91:92]
	v_fma_f64 v[20:21], v[173:174], v[109:110], -v[20:21]
	v_fma_f64 v[167:168], v[169:170], v[85:86], -v[44:45]
	v_mul_f64 v[26:27], v[177:178], v[99:100]
	v_mul_f64 v[24:25], v[179:180], v[99:100]
	;; [unrolled: 1-line block ×4, first 2 shown]
	v_add_f64 v[53:54], v[0:1], v[8:9]
	v_fma_f64 v[173:174], v[141:142], v[89:90], -v[40:41]
	v_mul_f64 v[40:41], v[141:142], v[91:92]
	v_add_f64 v[55:56], v[2:3], v[10:11]
	v_fma_f64 v[26:27], v[179:180], v[97:98], v[26:27]
	v_fma_f64 v[24:25], v[177:178], v[97:98], -v[24:25]
	v_fma_f64 v[28:29], v[181:182], v[89:90], -v[28:29]
	v_fma_f64 v[30:31], v[183:184], v[89:90], v[30:31]
	s_waitcnt vmcnt(0)
	v_mul_f64 v[36:37], v[151:152], v[95:96]
	v_mul_f64 v[38:39], v[149:150], v[95:96]
	v_fma_f64 v[169:170], v[143:144], v[89:90], v[40:41]
	ds_read_b128 v[141:144], v206 offset:34816
	v_add_f64 v[53:54], v[53:54], v[20:21]
	v_add_f64 v[55:56], v[55:56], v[22:23]
	v_mul_f64 v[42:43], v[145:146], v[99:100]
	v_fma_f64 v[163:164], v[171:172], v[85:86], v[46:47]
	s_waitcnt lgkmcnt(0)
	v_mul_f64 v[40:41], v[143:144], v[83:84]
	v_fma_f64 v[36:37], v[149:150], v[93:94], -v[36:37]
	v_fma_f64 v[38:39], v[151:152], v[93:94], v[38:39]
	v_add_f64 v[44:45], v[18:19], v[26:27]
	v_add_f64 v[53:54], v[53:54], v[28:29]
	;; [unrolled: 1-line block ×3, first 2 shown]
	v_fma_f64 v[171:172], v[147:148], v[97:98], v[42:43]
	v_add_f64 v[42:43], v[4:5], v[32:33]
	v_fma_f64 v[179:180], v[141:142], v[81:82], -v[40:41]
	v_mul_f64 v[40:41], v[141:142], v[83:84]
	v_add_f64 v[46:47], v[6:7], v[34:35]
	v_add_f64 v[57:58], v[38:39], -v[30:31]
	v_add_f64 v[53:54], v[53:54], v[36:37]
	v_add_f64 v[55:56], v[55:56], v[38:39]
	v_add_f64 v[59:60], v[22:23], v[30:31]
	v_add_f64 v[209:210], v[10:11], -v[38:39]
	v_add_f64 v[235:236], v[22:23], -v[30:31]
	v_fma_f64 v[181:182], v[143:144], v[81:82], v[40:41]
	ds_read_b128 v[141:144], v206 offset:38912
	v_add_f64 v[149:150], v[8:9], -v[36:37]
	v_add_f64 v[207:208], v[20:21], -v[28:29]
	;; [unrolled: 1-line block ×3, first 2 shown]
	v_fma_f64 v[59:60], v[59:60], -0.5, v[2:3]
	s_waitcnt lgkmcnt(0)
	v_mul_f64 v[40:41], v[143:144], v[95:96]
	v_add_f64 v[12:13], v[14:15], -v[24:25]
	v_add_f64 v[237:238], v[6:7], -v[34:35]
	;; [unrolled: 1-line block ×3, first 2 shown]
	v_fma_f64 v[151:152], v[149:150], s[18:19], v[59:60]
	v_fma_f64 v[183:184], v[141:142], v[93:94], -v[40:41]
	v_mul_f64 v[40:41], v[141:142], v[95:96]
	v_fma_f64 v[151:152], v[207:208], s[16:17], v[151:152]
	v_fma_f64 v[177:178], v[143:144], v[93:94], v[40:41]
	ds_read_b128 v[141:144], v206
	v_add_f64 v[40:41], v[14:15], v[24:25]
	s_waitcnt lgkmcnt(0)
	v_add_f64 v[49:50], v[141:142], v[4:5]
	v_add_f64 v[51:52], v[143:144], v[6:7]
	v_fma_f64 v[42:43], v[42:43], -0.5, v[141:142]
	v_fma_f64 v[44:45], v[44:45], -0.5, v[143:144]
	;; [unrolled: 1-line block ×4, first 2 shown]
	v_add_f64 v[49:50], v[49:50], v[14:15]
	v_add_f64 v[51:52], v[51:52], v[18:19]
	;; [unrolled: 1-line block ×8, first 2 shown]
	v_add_f64 v[145:146], v[49:50], -v[53:54]
	v_add_f64 v[147:148], v[51:52], -v[55:56]
	;; [unrolled: 1-line block ×9, first 2 shown]
	v_add_f64 v[49:50], v[49:50], v[51:52]
	v_add_f64 v[51:52], v[6:7], -v[18:19]
	v_add_f64 v[6:7], v[18:19], -v[6:7]
	;; [unrolled: 1-line block ×4, first 2 shown]
	v_add_f64 v[4:5], v[4:5], v[14:15]
	v_add_f64 v[34:35], v[159:160], -v[183:184]
	v_add_f64 v[51:52], v[51:52], v[53:54]
	v_add_f64 v[53:54], v[8:9], -v[20:21]
	v_add_f64 v[6:7], v[6:7], v[18:19]
	v_add_f64 v[53:54], v[53:54], v[55:56]
	v_add_f64 v[55:56], v[10:11], -v[22:23]
	v_add_f64 v[22:23], v[22:23], -v[10:11]
	v_add_f64 v[10:11], v[10:11], v[38:39]
	v_add_f64 v[38:39], v[155:156], -v[177:178]
	v_add_f64 v[55:56], v[55:56], v[57:58]
	v_add_f64 v[57:58], v[20:21], v[28:29]
	v_add_f64 v[20:21], v[20:21], -v[8:9]
	v_add_f64 v[8:9], v[8:9], v[36:37]
	v_fma_f64 v[2:3], v[10:11], -0.5, v[2:3]
	v_add_f64 v[10:11], v[22:23], v[26:27]
	v_fma_f64 v[22:23], v[12:13], s[8:9], v[46:47]
	v_add_f64 v[36:37], v[165:166], -v[173:174]
	v_fma_f64 v[151:152], v[55:56], s[14:15], v[151:152]
	v_fma_f64 v[57:58], v[57:58], -0.5, v[0:1]
	v_fma_f64 v[0:1], v[8:9], -0.5, v[0:1]
	v_fma_f64 v[14:15], v[207:208], s[8:9], v[2:3]
	v_add_f64 v[8:9], v[20:21], v[24:25]
	v_fma_f64 v[22:23], v[252:253], s[16:17], v[22:23]
	v_fma_f64 v[2:3], v[207:208], s[18:19], v[2:3]
	v_mul_f64 v[189:190], v[151:152], s[12:13]
	v_fma_f64 v[187:188], v[209:210], s[8:9], v[57:58]
	v_fma_f64 v[18:19], v[235:236], s[18:19], v[0:1]
	;; [unrolled: 1-line block ×13, first 2 shown]
	v_mul_f64 v[20:21], v[14:15], s[8:9]
	v_fma_f64 v[0:1], v[8:9], s[14:15], v[0:1]
	v_fma_f64 v[191:192], v[187:188], s[20:21], v[189:190]
	v_mul_f64 v[187:188], v[187:188], s[16:17]
	v_fma_f64 v[189:190], v[252:253], s[18:19], v[44:45]
	v_fma_f64 v[20:21], v[18:19], s[14:15], v[20:21]
	v_mul_f64 v[18:19], v[18:19], s[18:19]
	v_mul_f64 v[8:9], v[0:1], s[22:23]
	v_fma_f64 v[151:152], v[151:152], s[20:21], v[187:188]
	v_fma_f64 v[187:188], v[237:238], s[8:9], v[40:41]
	;; [unrolled: 1-line block ×6, first 2 shown]
	v_mul_f64 v[2:3], v[2:3], s[22:23]
	v_fma_f64 v[187:188], v[250:251], s[12:13], v[187:188]
	v_fma_f64 v[195:196], v[51:52], s[14:15], v[189:190]
	v_add_f64 v[197:198], v[22:23], v[14:15]
	v_add_f64 v[201:202], v[22:23], -v[14:15]
	v_fma_f64 v[14:15], v[250:251], s[8:9], v[42:43]
	v_fma_f64 v[18:19], v[237:238], s[12:13], v[18:19]
	;; [unrolled: 1-line block ×5, first 2 shown]
	v_add_f64 v[189:190], v[195:196], v[151:152]
	v_add_f64 v[40:41], v[161:162], -v[169:170]
	v_add_f64 v[42:43], v[153:154], -v[181:182]
	v_fma_f64 v[14:15], v[237:238], s[16:17], v[14:15]
	v_fma_f64 v[18:19], v[4:5], s[14:15], v[18:19]
	;; [unrolled: 1-line block ×3, first 2 shown]
	v_add_f64 v[187:188], v[193:194], v[191:192]
	v_add_f64 v[191:192], v[193:194], -v[191:192]
	v_add_f64 v[193:194], v[195:196], -v[151:152]
	v_fma_f64 v[4:5], v[4:5], s[14:15], v[14:15]
	v_fma_f64 v[14:15], v[12:13], s[18:19], v[46:47]
	v_add_f64 v[195:196], v[18:19], v[20:21]
	v_add_f64 v[199:200], v[18:19], -v[20:21]
	v_fma_f64 v[2:3], v[49:50], s[14:15], v[2:3]
	v_add_f64 v[46:47], v[157:158], -v[179:180]
	v_add_f64 v[49:50], v[167:168], -v[175:176]
	v_add_f64 v[242:243], v[4:5], v[8:9]
	v_fma_f64 v[14:15], v[252:253], s[12:13], v[14:15]
	v_add_f64 v[246:247], v[4:5], -v[8:9]
	v_fma_f64 v[4:5], v[252:253], s[8:9], v[44:45]
	v_add_f64 v[44:45], v[163:164], -v[171:172]
	v_fma_f64 v[6:7], v[6:7], s[14:15], v[14:15]
	v_fma_f64 v[4:5], v[12:13], s[12:13], v[4:5]
	v_add_f64 v[244:245], v[6:7], v[0:1]
	v_add_f64 v[248:249], v[6:7], -v[0:1]
	v_fma_f64 v[0:1], v[209:210], s[18:19], v[57:58]
	v_fma_f64 v[6:7], v[149:150], s[8:9], v[59:60]
	;; [unrolled: 1-line block ×3, first 2 shown]
	ds_read_b128 v[149:152], v206 offset:2048
	v_add_f64 v[59:60], v[165:166], -v[159:160]
	v_add_f64 v[57:58], v[171:172], -v[181:182]
	s_waitcnt lgkmcnt(0)
	s_barrier
	v_fma_f64 v[0:1], v[235:236], s[16:17], v[0:1]
	v_fma_f64 v[6:7], v[207:208], s[12:13], v[6:7]
	;; [unrolled: 1-line block ×4, first 2 shown]
	v_add_f64 v[55:56], v[163:164], -v[153:154]
	v_mul_f64 v[8:9], v[0:1], s[24:25]
	v_fma_f64 v[8:9], v[6:7], s[12:13], v[8:9]
	v_mul_f64 v[6:7], v[6:7], s[24:25]
	v_add_f64 v[250:251], v[2:3], v[8:9]
	v_fma_f64 v[0:1], v[0:1], s[16:17], v[6:7]
	v_add_f64 v[207:208], v[2:3], -v[8:9]
	v_add_f64 v[2:3], v[151:152], v[153:154]
	v_add_f64 v[6:7], v[185:186], v[155:156]
	;; [unrolled: 1-line block ×3, first 2 shown]
	v_add_f64 v[209:210], v[4:5], -v[0:1]
	v_add_f64 v[0:1], v[167:168], v[175:176]
	v_add_f64 v[4:5], v[203:204], v[159:160]
	v_add_f64 v[2:3], v[2:3], v[163:164]
	v_add_f64 v[6:7], v[6:7], v[161:162]
	v_fma_f64 v[12:13], v[0:1], -0.5, v[149:150]
	v_add_f64 v[0:1], v[157:158], v[179:180]
	v_add_f64 v[4:5], v[4:5], v[165:166]
	v_add_f64 v[2:3], v[2:3], v[171:172]
	v_add_f64 v[6:7], v[6:7], v[169:170]
	v_fma_f64 v[14:15], v[0:1], -0.5, v[149:150]
	v_add_f64 v[0:1], v[163:164], v[171:172]
	v_add_f64 v[4:5], v[4:5], v[173:174]
	v_add_f64 v[2:3], v[2:3], v[181:182]
	v_add_f64 v[6:7], v[6:7], v[177:178]
	v_fma_f64 v[18:19], v[0:1], -0.5, v[151:152]
	v_add_f64 v[0:1], v[153:154], v[181:182]
	v_add_f64 v[4:5], v[4:5], v[183:184]
	v_add_f64 v[10:11], v[2:3], -v[6:7]
	v_fma_f64 v[20:21], v[0:1], -0.5, v[151:152]
	v_add_f64 v[0:1], v[149:150], v[157:158]
	v_add_f64 v[151:152], v[2:3], v[6:7]
	v_add_f64 v[2:3], v[179:180], -v[175:176]
	v_add_f64 v[0:1], v[0:1], v[167:168]
	v_add_f64 v[0:1], v[0:1], v[175:176]
	;; [unrolled: 1-line block ×4, first 2 shown]
	v_add_f64 v[8:9], v[0:1], -v[4:5]
	v_add_f64 v[0:1], v[157:158], -v[167:168]
	v_add_f64 v[22:23], v[0:1], v[2:3]
	v_add_f64 v[0:1], v[153:154], -v[163:164]
	v_add_f64 v[2:3], v[181:182], -v[171:172]
	v_add_f64 v[153:154], v[159:160], v[183:184]
	v_add_f64 v[24:25], v[0:1], v[2:3]
	v_add_f64 v[0:1], v[159:160], -v[165:166]
	v_add_f64 v[2:3], v[183:184], -v[173:174]
	;; [unrolled: 1-line block ×3, first 2 shown]
	v_add_f64 v[26:27], v[0:1], v[2:3]
	v_add_f64 v[0:1], v[155:156], -v[161:162]
	v_add_f64 v[2:3], v[177:178], -v[169:170]
	v_add_f64 v[155:156], v[155:156], v[177:178]
	v_add_f64 v[28:29], v[0:1], v[2:3]
	;; [unrolled: 1-line block ×3, first 2 shown]
	v_fma_f64 v[163:164], v[155:156], -0.5, v[185:186]
	v_fma_f64 v[30:31], v[0:1], -0.5, v[203:204]
	v_add_f64 v[0:1], v[161:162], v[169:170]
	v_add_f64 v[161:162], v[169:170], -v[177:178]
	v_fma_f64 v[2:3], v[38:39], s[8:9], v[30:31]
	v_fma_f64 v[32:33], v[0:1], -0.5, v[185:186]
	v_fma_f64 v[2:3], v[40:41], s[12:13], v[2:3]
	v_fma_f64 v[0:1], v[34:35], s[18:19], v[32:33]
	;; [unrolled: 1-line block ×5, first 2 shown]
	v_mul_f64 v[4:5], v[0:1], s[12:13]
	v_fma_f64 v[4:5], v[2:3], s[20:21], v[4:5]
	v_mul_f64 v[2:3], v[2:3], s[16:17]
	v_fma_f64 v[6:7], v[0:1], s[20:21], v[2:3]
	v_fma_f64 v[0:1], v[42:43], s[8:9], v[12:13]
	;; [unrolled: 1-line block ×13, first 2 shown]
	v_add_f64 v[0:1], v[51:52], v[4:5]
	v_add_f64 v[2:3], v[53:54], v[6:7]
	v_add_f64 v[4:5], v[51:52], -v[4:5]
	v_add_f64 v[6:7], v[53:54], -v[6:7]
	;; [unrolled: 1-line block ×5, first 2 shown]
	v_add_f64 v[51:52], v[51:52], v[53:54]
	v_add_f64 v[53:54], v[55:56], v[57:58]
	v_fma_f64 v[55:56], v[153:154], -0.5, v[203:204]
	v_fma_f64 v[153:154], v[36:37], s[8:9], v[163:164]
	v_add_f64 v[57:58], v[59:60], v[157:158]
	v_add_f64 v[59:60], v[159:160], v[161:162]
	v_fma_f64 v[155:156], v[40:41], s[18:19], v[55:56]
	v_fma_f64 v[153:154], v[34:35], s[16:17], v[153:154]
	;; [unrolled: 1-line block ×5, first 2 shown]
	v_mul_f64 v[157:158], v[153:154], s[8:9]
	v_fma_f64 v[157:158], v[155:156], s[14:15], v[157:158]
	v_mul_f64 v[155:156], v[155:156], s[18:19]
	v_fma_f64 v[159:160], v[153:154], s[14:15], v[155:156]
	v_fma_f64 v[153:154], v[44:45], s[18:19], v[14:15]
	;; [unrolled: 1-line block ×15, first 2 shown]
	v_add_f64 v[153:154], v[161:162], v[157:158]
	v_add_f64 v[157:158], v[161:162], -v[157:158]
	v_fma_f64 v[51:52], v[38:39], s[16:17], v[51:52]
	v_add_f64 v[155:156], v[165:166], v[159:160]
	v_add_f64 v[159:160], v[165:166], -v[159:160]
	v_fma_f64 v[53:54], v[34:35], s[12:13], v[53:54]
	v_fma_f64 v[51:52], v[57:58], s[14:15], v[51:52]
	;; [unrolled: 1-line block ×3, first 2 shown]
	v_mul_f64 v[55:56], v[51:52], s[22:23]
	v_fma_f64 v[55:56], v[53:54], s[8:9], v[55:56]
	v_mul_f64 v[53:54], v[53:54], s[22:23]
	v_add_f64 v[161:162], v[14:15], v[55:56]
	v_fma_f64 v[51:52], v[51:52], s[18:19], v[53:54]
	v_add_f64 v[165:166], v[14:15], -v[55:56]
	v_fma_f64 v[14:15], v[38:39], s[18:19], v[30:31]
	v_add_f64 v[163:164], v[20:21], v[51:52]
	v_add_f64 v[167:168], v[20:21], -v[51:52]
	v_fma_f64 v[20:21], v[34:35], s[8:9], v[32:33]
	v_fma_f64 v[14:15], v[40:41], s[16:17], v[14:15]
	;; [unrolled: 1-line block ×5, first 2 shown]
	v_mul_f64 v[22:23], v[14:15], s[24:25]
	v_fma_f64 v[22:23], v[20:21], s[12:13], v[22:23]
	v_mul_f64 v[20:21], v[20:21], s[24:25]
	v_add_f64 v[169:170], v[12:13], v[22:23]
	v_fma_f64 v[14:15], v[14:15], s[16:17], v[20:21]
	v_add_f64 v[173:174], v[12:13], -v[22:23]
	v_lshrrev_b32_e32 v12, 6, v254
	v_mul_u32_u24_e32 v12, 0x280, v12
	v_or_b32_e32 v12, v12, v16
	v_lshlrev_b32_e32 v228, 4, v12
	v_lshrrev_b32_e32 v12, 6, v230
	v_mul_u32_u24_e32 v12, 0x280, v12
	v_add_f64 v[171:172], v[18:19], v[14:15]
	v_add_f64 v[175:176], v[18:19], -v[14:15]
	v_mad_u64_u32 v[18:19], s[10:11], v254, 48, s[10:11]
	v_or_b32_e32 v12, v12, v16
	v_lshlrev_b32_e32 v230, 4, v12
	s_movk_i32 s11, 0x2000
	ds_write_b128 v228, v[141:144]
	ds_write_b128 v228, v[187:190] offset:1024
	ds_write_b128 v228, v[195:198] offset:2048
	;; [unrolled: 1-line block ×9, first 2 shown]
	ds_write_b128 v230, v[149:152]
	ds_write_b128 v230, v[0:3] offset:1024
	ds_write_b128 v230, v[153:156] offset:2048
	;; [unrolled: 1-line block ×9, first 2 shown]
	v_add_co_u32_e32 v0, vcc, s11, v18
	s_movk_i32 s10, 0x27c0
	v_addc_co_u32_e32 v1, vcc, 0, v19, vcc
	s_waitcnt lgkmcnt(0)
	s_barrier
	global_load_dwordx4 v[145:148], v[0:1], off offset:1984
	v_add_co_u32_e32 v0, vcc, s10, v18
	v_addc_co_u32_e32 v1, vcc, 0, v19, vcc
	global_load_dwordx4 v[141:144], v[0:1], off offset:32
	global_load_dwordx4 v[149:152], v[0:1], off offset:16
	s_movk_i32 s10, 0x3000
	v_add_co_u32_e32 v0, vcc, s10, v18
	s_movk_i32 s11, 0x3fc0
	v_addc_co_u32_e32 v1, vcc, 0, v19, vcc
	global_load_dwordx4 v[153:156], v[0:1], off offset:4032
	v_add_co_u32_e32 v0, vcc, s11, v18
	v_addc_co_u32_e32 v1, vcc, 0, v19, vcc
	global_load_dwordx4 v[161:164], v[0:1], off offset:16
	global_load_dwordx4 v[157:160], v[0:1], off offset:32
	s_movk_i32 s10, 0x5000
	v_add_co_u32_e32 v0, vcc, s10, v18
	v_addc_co_u32_e32 v1, vcc, 0, v19, vcc
	global_load_dwordx4 v[165:168], v[0:1], off offset:1984
	ds_read_b128 v[0:3], v206 offset:10240
	ds_read_b128 v[4:7], v206 offset:20480
	;; [unrolled: 1-line block ×5, first 2 shown]
	s_movk_i32 s10, 0x57c0
	s_waitcnt vmcnt(6) lgkmcnt(4)
	v_mul_f64 v[20:21], v[2:3], v[147:148]
	v_mul_f64 v[22:23], v[0:1], v[147:148]
	s_waitcnt vmcnt(5) lgkmcnt(1)
	v_mul_f64 v[28:29], v[15:16], v[143:144]
	s_waitcnt vmcnt(4)
	v_mul_f64 v[24:25], v[6:7], v[151:152]
	v_mul_f64 v[26:27], v[4:5], v[151:152]
	;; [unrolled: 1-line block ×3, first 2 shown]
	v_fma_f64 v[20:21], v[0:1], v[145:146], -v[20:21]
	v_fma_f64 v[22:23], v[2:3], v[145:146], v[22:23]
	ds_read_b128 v[0:3], v206 offset:14336
	s_waitcnt vmcnt(3) lgkmcnt(1)
	v_mul_f64 v[32:33], v[171:172], v[155:156]
	v_fma_f64 v[24:25], v[4:5], v[149:150], -v[24:25]
	v_fma_f64 v[26:27], v[6:7], v[149:150], v[26:27]
	ds_read_b128 v[4:7], v206 offset:32768
	s_waitcnt vmcnt(2)
	v_mul_f64 v[36:37], v[10:11], v[163:164]
	v_mul_f64 v[34:35], v[169:170], v[155:156]
	;; [unrolled: 1-line block ×3, first 2 shown]
	v_fma_f64 v[12:13], v[13:14], v[141:142], -v[28:29]
	v_fma_f64 v[28:29], v[169:170], v[153:154], -v[32:33]
	v_fma_f64 v[14:15], v[15:16], v[141:142], v[30:31]
	v_fma_f64 v[32:33], v[8:9], v[161:162], -v[36:37]
	s_waitcnt vmcnt(1) lgkmcnt(0)
	v_mul_f64 v[8:9], v[6:7], v[159:160]
	v_fma_f64 v[30:31], v[171:172], v[153:154], v[34:35]
	v_fma_f64 v[34:35], v[10:11], v[161:162], v[38:39]
	v_mul_f64 v[10:11], v[4:5], v[159:160]
	s_waitcnt vmcnt(0)
	v_mul_f64 v[36:37], v[2:3], v[167:168]
	v_mul_f64 v[38:39], v[0:1], v[167:168]
	v_add_f64 v[12:13], v[20:21], -v[12:13]
	v_add_f64 v[14:15], v[22:23], -v[14:15]
	v_fma_f64 v[40:41], v[4:5], v[157:158], -v[8:9]
	v_add_co_u32_e32 v4, vcc, s10, v18
	v_addc_co_u32_e32 v5, vcc, 0, v19, vcc
	global_load_dwordx4 v[169:172], v[4:5], off offset:16
	global_load_dwordx4 v[173:176], v[4:5], off offset:32
	v_fma_f64 v[36:37], v[0:1], v[165:166], -v[36:37]
	v_fma_f64 v[38:39], v[2:3], v[165:166], v[38:39]
	ds_read_b128 v[0:3], v206 offset:24576
	v_fma_f64 v[42:43], v[6:7], v[157:158], v[10:11]
	s_movk_i32 s10, 0x6000
	s_waitcnt vmcnt(1) lgkmcnt(0)
	v_mul_f64 v[6:7], v[2:3], v[171:172]
	v_fma_f64 v[44:45], v[0:1], v[169:170], -v[6:7]
	v_mul_f64 v[0:1], v[0:1], v[171:172]
	v_fma_f64 v[46:47], v[2:3], v[169:170], v[0:1]
	ds_read_b128 v[0:3], v206 offset:34816
	s_waitcnt vmcnt(0) lgkmcnt(0)
	v_mul_f64 v[4:5], v[2:3], v[175:176]
	v_fma_f64 v[49:50], v[0:1], v[173:174], -v[4:5]
	v_mul_f64 v[0:1], v[0:1], v[175:176]
	v_fma_f64 v[51:52], v[2:3], v[173:174], v[0:1]
	v_add_co_u32_e32 v0, vcc, s10, v18
	v_addc_co_u32_e32 v1, vcc, 0, v19, vcc
	global_load_dwordx4 v[181:184], v[0:1], off offset:4032
	ds_read_b128 v[0:3], v206 offset:16384
	s_movk_i32 s10, 0x6fc0
	s_waitcnt vmcnt(0) lgkmcnt(0)
	v_mul_f64 v[4:5], v[2:3], v[183:184]
	v_fma_f64 v[53:54], v[0:1], v[181:182], -v[4:5]
	v_add_co_u32_e32 v4, vcc, s10, v18
	v_addc_co_u32_e32 v5, vcc, 0, v19, vcc
	global_load_dwordx4 v[177:180], v[4:5], off offset:16
	global_load_dwordx4 v[185:188], v[4:5], off offset:32
	v_mul_f64 v[0:1], v[0:1], v[183:184]
	s_mov_b32 s10, 0x8000
	v_fma_f64 v[55:56], v[2:3], v[181:182], v[0:1]
	ds_read_b128 v[0:3], v206 offset:26624
	s_waitcnt vmcnt(1) lgkmcnt(0)
	v_mul_f64 v[6:7], v[2:3], v[179:180]
	v_fma_f64 v[57:58], v[0:1], v[177:178], -v[6:7]
	v_mul_f64 v[0:1], v[0:1], v[179:180]
	v_fma_f64 v[59:60], v[2:3], v[177:178], v[0:1]
	ds_read_b128 v[0:3], v206 offset:36864
	s_waitcnt vmcnt(0) lgkmcnt(0)
	v_mul_f64 v[4:5], v[2:3], v[187:188]
	v_fma_f64 v[201:202], v[0:1], v[185:186], -v[4:5]
	v_mul_f64 v[0:1], v[0:1], v[187:188]
	v_fma_f64 v[203:204], v[2:3], v[185:186], v[0:1]
	v_add_co_u32_e32 v0, vcc, s10, v18
	v_addc_co_u32_e32 v1, vcc, 0, v19, vcc
	global_load_dwordx4 v[189:192], v[0:1], off offset:1984
	ds_read_b128 v[0:3], v206 offset:18432
	s_mov_b32 s10, 0x87c0
	s_waitcnt vmcnt(0) lgkmcnt(0)
	v_mul_f64 v[4:5], v[2:3], v[191:192]
	v_fma_f64 v[207:208], v[0:1], v[189:190], -v[4:5]
	v_add_co_u32_e32 v4, vcc, s10, v18
	v_addc_co_u32_e32 v5, vcc, 0, v19, vcc
	global_load_dwordx4 v[193:196], v[4:5], off offset:16
	global_load_dwordx4 v[197:200], v[4:5], off offset:32
	v_mul_f64 v[0:1], v[0:1], v[191:192]
	v_fma_f64 v[209:210], v[2:3], v[189:190], v[0:1]
	ds_read_b128 v[0:3], v206 offset:28672
	s_waitcnt vmcnt(1) lgkmcnt(0)
	v_mul_f64 v[6:7], v[2:3], v[195:196]
	v_fma_f64 v[18:19], v[0:1], v[193:194], -v[6:7]
	v_mul_f64 v[0:1], v[0:1], v[195:196]
	v_fma_f64 v[235:236], v[2:3], v[193:194], v[0:1]
	ds_read_b128 v[0:3], v206 offset:38912
	s_waitcnt vmcnt(0) lgkmcnt(0)
	v_mul_f64 v[4:5], v[2:3], v[199:200]
	v_fma_f64 v[237:238], v[0:1], v[197:198], -v[4:5]
	v_mul_f64 v[0:1], v[0:1], v[199:200]
	v_fma_f64 v[242:243], v[2:3], v[197:198], v[0:1]
	ds_read_b128 v[0:3], v206
	s_waitcnt lgkmcnt(0)
	v_add_f64 v[8:9], v[0:1], -v[24:25]
	v_add_f64 v[10:11], v[2:3], -v[26:27]
	v_fma_f64 v[4:5], v[0:1], 2.0, -v[8:9]
	v_fma_f64 v[6:7], v[2:3], 2.0, -v[10:11]
	;; [unrolled: 1-line block ×4, first 2 shown]
	v_add_f64 v[0:1], v[4:5], -v[0:1]
	v_add_f64 v[2:3], v[6:7], -v[2:3]
	v_fma_f64 v[4:5], v[4:5], 2.0, -v[0:1]
	v_fma_f64 v[6:7], v[6:7], 2.0, -v[2:3]
	ds_write_b128 v206, v[4:7]
	v_add_f64 v[4:5], v[8:9], -v[14:15]
	v_add_f64 v[6:7], v[10:11], v[12:13]
	v_add_f64 v[12:13], v[28:29], -v[40:41]
	v_add_f64 v[14:15], v[30:31], -v[42:43]
	v_fma_f64 v[8:9], v[8:9], 2.0, -v[4:5]
	v_fma_f64 v[10:11], v[10:11], 2.0, -v[6:7]
	ds_write_b128 v206, v[8:11] offset:10240
	ds_write_b128 v206, v[0:3] offset:20480
	ds_write_b128 v206, v[4:7] offset:30720
	ds_read_b128 v[0:3], v206 offset:2048
	s_waitcnt lgkmcnt(0)
	v_add_f64 v[8:9], v[0:1], -v[32:33]
	v_add_f64 v[10:11], v[2:3], -v[34:35]
	v_fma_f64 v[4:5], v[0:1], 2.0, -v[8:9]
	v_fma_f64 v[6:7], v[2:3], 2.0, -v[10:11]
	v_fma_f64 v[0:1], v[28:29], 2.0, -v[12:13]
	v_fma_f64 v[2:3], v[30:31], 2.0, -v[14:15]
	v_add_f64 v[0:1], v[4:5], -v[0:1]
	v_add_f64 v[2:3], v[6:7], -v[2:3]
	v_fma_f64 v[4:5], v[4:5], 2.0, -v[0:1]
	v_fma_f64 v[6:7], v[6:7], 2.0, -v[2:3]
	ds_write_b128 v206, v[4:7] offset:2048
	v_add_f64 v[4:5], v[8:9], -v[14:15]
	v_add_f64 v[6:7], v[10:11], v[12:13]
	v_add_f64 v[12:13], v[36:37], -v[49:50]
	v_add_f64 v[14:15], v[38:39], -v[51:52]
	v_fma_f64 v[8:9], v[8:9], 2.0, -v[4:5]
	v_fma_f64 v[10:11], v[10:11], 2.0, -v[6:7]
	ds_write_b128 v206, v[8:11] offset:12288
	ds_write_b128 v206, v[0:3] offset:22528
	ds_write_b128 v206, v[4:7] offset:32768
	ds_read_b128 v[0:3], v206 offset:4096
	s_waitcnt lgkmcnt(0)
	v_add_f64 v[8:9], v[0:1], -v[44:45]
	v_add_f64 v[10:11], v[2:3], -v[46:47]
	v_fma_f64 v[4:5], v[0:1], 2.0, -v[8:9]
	v_fma_f64 v[6:7], v[2:3], 2.0, -v[10:11]
	v_fma_f64 v[0:1], v[36:37], 2.0, -v[12:13]
	v_fma_f64 v[2:3], v[38:39], 2.0, -v[14:15]
	v_add_f64 v[0:1], v[4:5], -v[0:1]
	v_add_f64 v[2:3], v[6:7], -v[2:3]
	v_fma_f64 v[4:5], v[4:5], 2.0, -v[0:1]
	v_fma_f64 v[6:7], v[6:7], 2.0, -v[2:3]
	ds_write_b128 v206, v[4:7] offset:4096
	v_add_f64 v[4:5], v[8:9], -v[14:15]
	v_add_f64 v[6:7], v[10:11], v[12:13]
	v_add_f64 v[12:13], v[53:54], -v[201:202]
	v_add_f64 v[14:15], v[55:56], -v[203:204]
	v_fma_f64 v[8:9], v[8:9], 2.0, -v[4:5]
	v_fma_f64 v[10:11], v[10:11], 2.0, -v[6:7]
	ds_write_b128 v206, v[8:11] offset:14336
	ds_write_b128 v206, v[0:3] offset:24576
	ds_write_b128 v206, v[4:7] offset:34816
	ds_read_b128 v[0:3], v206 offset:6144
	s_waitcnt lgkmcnt(0)
	v_add_f64 v[8:9], v[0:1], -v[57:58]
	v_add_f64 v[10:11], v[2:3], -v[59:60]
	v_fma_f64 v[4:5], v[0:1], 2.0, -v[8:9]
	v_fma_f64 v[6:7], v[2:3], 2.0, -v[10:11]
	v_fma_f64 v[0:1], v[53:54], 2.0, -v[12:13]
	v_fma_f64 v[2:3], v[55:56], 2.0, -v[14:15]
	v_add_f64 v[0:1], v[4:5], -v[0:1]
	v_add_f64 v[2:3], v[6:7], -v[2:3]
	v_fma_f64 v[4:5], v[4:5], 2.0, -v[0:1]
	v_fma_f64 v[6:7], v[6:7], 2.0, -v[2:3]
	ds_write_b128 v206, v[4:7] offset:6144
	v_add_f64 v[4:5], v[8:9], -v[14:15]
	v_add_f64 v[6:7], v[10:11], v[12:13]
	v_add_f64 v[12:13], v[207:208], -v[237:238]
	v_add_f64 v[14:15], v[209:210], -v[242:243]
	v_fma_f64 v[8:9], v[8:9], 2.0, -v[4:5]
	v_fma_f64 v[10:11], v[10:11], 2.0, -v[6:7]
	ds_write_b128 v206, v[8:11] offset:16384
	ds_write_b128 v206, v[0:3] offset:26624
	ds_write_b128 v206, v[4:7] offset:36864
	ds_read_b128 v[0:3], v206 offset:8192
	s_waitcnt lgkmcnt(0)
	v_add_f64 v[8:9], v[0:1], -v[18:19]
	v_add_f64 v[10:11], v[2:3], -v[235:236]
	v_fma_f64 v[4:5], v[0:1], 2.0, -v[8:9]
	v_fma_f64 v[6:7], v[2:3], 2.0, -v[10:11]
	v_fma_f64 v[0:1], v[207:208], 2.0, -v[12:13]
	v_fma_f64 v[2:3], v[209:210], 2.0, -v[14:15]
	v_add_f64 v[0:1], v[4:5], -v[0:1]
	v_add_f64 v[2:3], v[6:7], -v[2:3]
	v_fma_f64 v[4:5], v[4:5], 2.0, -v[0:1]
	v_fma_f64 v[6:7], v[6:7], 2.0, -v[2:3]
	ds_write_b128 v206, v[4:7] offset:8192
	v_add_f64 v[4:5], v[8:9], -v[14:15]
	v_add_f64 v[6:7], v[10:11], v[12:13]
	v_fma_f64 v[8:9], v[8:9], 2.0, -v[4:5]
	v_fma_f64 v[10:11], v[10:11], 2.0, -v[6:7]
	ds_write_b128 v206, v[8:11] offset:18432
	ds_write_b128 v206, v[0:3] offset:28672
	;; [unrolled: 1-line block ×3, first 2 shown]
	s_waitcnt lgkmcnt(0)
	s_barrier
	global_load_dwordx4 v[0:3], v206, s[6:7]
	ds_read_b128 v[207:210], v206 offset:30720
	ds_read_b128 v[4:7], v206
	ds_read_b128 v[242:245], v206 offset:2048
	ds_read_b128 v[246:249], v206 offset:12288
	;; [unrolled: 1-line block ×4, first 2 shown]
	s_waitcnt vmcnt(0) lgkmcnt(4)
	v_mul_f64 v[8:9], v[6:7], v[2:3]
	v_mul_f64 v[2:3], v[4:5], v[2:3]
	v_fma_f64 v[201:202], v[4:5], v[0:1], -v[8:9]
	v_fma_f64 v[203:204], v[6:7], v[0:1], v[2:3]
	global_load_dwordx4 v[0:3], v17, s[6:7]
	ds_read_b128 v[4:7], v206 offset:10240
	s_waitcnt vmcnt(0) lgkmcnt(0)
	v_mul_f64 v[8:9], v[6:7], v[2:3]
	v_mul_f64 v[2:3], v[4:5], v[2:3]
	v_fma_f64 v[58:59], v[4:5], v[0:1], -v[8:9]
	v_fma_f64 v[60:61], v[6:7], v[0:1], v[2:3]
	global_load_dwordx4 v[6:9], v62, s[6:7]
	s_waitcnt vmcnt(0)
	v_mul_f64 v[0:1], v[15:16], v[8:9]
	v_mul_f64 v[2:3], v[13:14], v[8:9]
	v_fma_f64 v[54:55], v[13:14], v[6:7], -v[0:1]
	v_fma_f64 v[56:57], v[15:16], v[6:7], v[2:3]
	global_load_dwordx4 v[13:16], v63, s[6:7]
	s_waitcnt vmcnt(0)
	v_mul_f64 v[0:1], v[209:210], v[15:16]
	v_mul_f64 v[2:3], v[207:208], v[15:16]
	v_fma_f64 v[207:208], v[207:208], v[13:14], -v[0:1]
	v_fma_f64 v[209:210], v[209:210], v[13:14], v[2:3]
	global_load_dwordx4 v[13:16], v206, s[6:7] offset:2048
	s_waitcnt vmcnt(0)
	v_mul_f64 v[0:1], v[244:245], v[15:16]
	v_mul_f64 v[2:3], v[242:243], v[15:16]
	v_fma_f64 v[242:243], v[242:243], v[13:14], -v[0:1]
	v_or_b32_e32 v0, 0x3000, v206
	v_fma_f64 v[244:245], v[244:245], v[13:14], v[2:3]
	global_load_dwordx4 v[13:16], v0, s[6:7]
	s_waitcnt vmcnt(0)
	v_mul_f64 v[0:1], v[248:249], v[15:16]
	v_mul_f64 v[2:3], v[246:247], v[15:16]
	v_fma_f64 v[246:247], v[246:247], v[13:14], -v[0:1]
	v_or_b32_e32 v0, 0x5800, v206
	v_fma_f64 v[248:249], v[248:249], v[13:14], v[2:3]
	global_load_dwordx4 v[13:16], v0, s[6:7]
	s_waitcnt vmcnt(0)
	v_mul_f64 v[0:1], v[252:253], v[15:16]
	v_mul_f64 v[2:3], v[250:251], v[15:16]
	v_fma_f64 v[250:251], v[250:251], v[13:14], -v[0:1]
	v_fma_f64 v[252:253], v[252:253], v[13:14], v[2:3]
	global_load_dwordx4 v[13:16], v64, s[6:7]
	ds_read_b128 v[0:3], v206 offset:32768
	s_waitcnt vmcnt(0) lgkmcnt(0)
	v_mul_f64 v[4:5], v[2:3], v[15:16]
	v_mul_f64 v[6:7], v[0:1], v[15:16]
	v_fma_f64 v[50:51], v[0:1], v[13:14], -v[4:5]
	buffer_load_dword v0, off, s[28:31], 0 offset:184 ; 4-byte Folded Reload
	v_fma_f64 v[52:53], v[2:3], v[13:14], v[6:7]
	ds_read_b128 v[13:16], v206 offset:4096
	s_waitcnt vmcnt(0)
	global_load_dwordx4 v[4:7], v0, s[6:7]
	s_waitcnt vmcnt(0) lgkmcnt(0)
	v_mul_f64 v[0:1], v[15:16], v[6:7]
	v_mul_f64 v[2:3], v[13:14], v[6:7]
	v_fma_f64 v[235:236], v[13:14], v[4:5], -v[0:1]
	v_or_b32_e32 v0, 0x3800, v206
	v_fma_f64 v[237:238], v[15:16], v[4:5], v[2:3]
	global_load_dwordx4 v[4:7], v0, s[6:7]
	ds_read_b128 v[0:3], v206 offset:14336
	s_waitcnt vmcnt(0) lgkmcnt(0)
	v_mul_f64 v[8:9], v[2:3], v[6:7]
	v_mul_f64 v[6:7], v[0:1], v[6:7]
	v_fma_f64 v[46:47], v[0:1], v[4:5], -v[8:9]
	v_or_b32_e32 v0, 0x6000, v206
	v_fma_f64 v[48:49], v[2:3], v[4:5], v[6:7]
	global_load_dwordx4 v[4:7], v0, s[6:7]
	ds_read_b128 v[0:3], v206 offset:24576
	;; [unrolled: 8-line block ×3, first 2 shown]
	s_waitcnt vmcnt(0) lgkmcnt(0)
	v_mul_f64 v[8:9], v[2:3], v[6:7]
	v_mul_f64 v[6:7], v[0:1], v[6:7]
	v_fma_f64 v[38:39], v[0:1], v[4:5], -v[8:9]
	buffer_load_dword v0, off, s[28:31], 0 offset:188 ; 4-byte Folded Reload
	v_fma_f64 v[40:41], v[2:3], v[4:5], v[6:7]
	s_waitcnt vmcnt(0)
	global_load_dwordx4 v[4:7], v0, s[6:7]
	ds_read_b128 v[0:3], v206 offset:6144
	s_waitcnt vmcnt(0) lgkmcnt(0)
	v_mul_f64 v[8:9], v[2:3], v[6:7]
	v_mul_f64 v[6:7], v[0:1], v[6:7]
	v_fma_f64 v[34:35], v[0:1], v[4:5], -v[8:9]
	v_or_b32_e32 v0, 0x4000, v206
	v_fma_f64 v[36:37], v[2:3], v[4:5], v[6:7]
	global_load_dwordx4 v[4:7], v0, s[6:7]
	ds_read_b128 v[0:3], v206 offset:16384
	s_waitcnt vmcnt(0) lgkmcnt(0)
	v_mul_f64 v[8:9], v[2:3], v[6:7]
	v_mul_f64 v[6:7], v[0:1], v[6:7]
	v_fma_f64 v[30:31], v[0:1], v[4:5], -v[8:9]
	v_or_b32_e32 v0, 0x6800, v206
	v_fma_f64 v[32:33], v[2:3], v[4:5], v[6:7]
	;; [unrolled: 8-line block ×3, first 2 shown]
	global_load_dwordx4 v[4:7], v0, s[6:7]
	ds_read_b128 v[0:3], v206 offset:36864
	s_waitcnt vmcnt(0) lgkmcnt(0)
	v_mul_f64 v[8:9], v[2:3], v[6:7]
	v_mul_f64 v[6:7], v[0:1], v[6:7]
	v_fma_f64 v[22:23], v[0:1], v[4:5], -v[8:9]
	buffer_load_dword v0, off, s[28:31], 0 offset:192 ; 4-byte Folded Reload
	v_fma_f64 v[24:25], v[2:3], v[4:5], v[6:7]
	s_waitcnt vmcnt(0)
	global_load_dwordx4 v[4:7], v0, s[6:7]
	ds_read_b128 v[0:3], v206 offset:8192
	s_waitcnt vmcnt(0) lgkmcnt(0)
	v_mul_f64 v[8:9], v[2:3], v[6:7]
	v_mul_f64 v[6:7], v[0:1], v[6:7]
	v_fma_f64 v[18:19], v[0:1], v[4:5], -v[8:9]
	v_or_b32_e32 v0, 0x4800, v206
	v_fma_f64 v[20:21], v[2:3], v[4:5], v[6:7]
	global_load_dwordx4 v[4:7], v0, s[6:7]
	ds_read_b128 v[0:3], v206 offset:18432
	s_waitcnt vmcnt(0) lgkmcnt(0)
	v_mul_f64 v[8:9], v[2:3], v[6:7]
	v_mul_f64 v[6:7], v[0:1], v[6:7]
	v_fma_f64 v[14:15], v[0:1], v[4:5], -v[8:9]
	v_or_b32_e32 v0, 0x7000, v206
	v_fma_f64 v[16:17], v[2:3], v[4:5], v[6:7]
	;; [unrolled: 8-line block ×3, first 2 shown]
	global_load_dwordx4 v[4:7], v0, s[6:7]
	ds_read_b128 v[0:3], v206 offset:38912
	s_waitcnt vmcnt(0) lgkmcnt(0)
	v_mul_f64 v[8:9], v[2:3], v[6:7]
	v_mul_f64 v[6:7], v[0:1], v[6:7]
	v_fma_f64 v[0:1], v[0:1], v[4:5], -v[8:9]
	v_fma_f64 v[2:3], v[2:3], v[4:5], v[6:7]
	ds_write_b128 v206, v[201:204]
	ds_write_b128 v206, v[58:61] offset:10240
	ds_write_b128 v206, v[54:57] offset:20480
	;; [unrolled: 1-line block ×19, first 2 shown]
	s_waitcnt lgkmcnt(0)
	s_barrier
	ds_read_b128 v[0:3], v206 offset:2048
	ds_read_b128 v[4:7], v206 offset:22528
	;; [unrolled: 1-line block ×4, first 2 shown]
	s_waitcnt lgkmcnt(2)
	v_add_f64 v[16:17], v[0:1], -v[4:5]
	v_add_f64 v[18:19], v[2:3], -v[6:7]
	s_waitcnt lgkmcnt(0)
	v_add_f64 v[20:21], v[14:15], -v[10:11]
	v_add_f64 v[22:23], v[12:13], -v[8:9]
	ds_read_b128 v[8:11], v206 offset:14336
	v_fma_f64 v[242:243], v[0:1], 2.0, -v[16:17]
	v_fma_f64 v[244:245], v[2:3], 2.0, -v[18:19]
	v_add_f64 v[4:5], v[16:17], v[20:21]
	v_add_f64 v[6:7], v[18:19], -v[22:23]
	v_fma_f64 v[61:62], v[12:13], 2.0, -v[22:23]
	v_fma_f64 v[63:64], v[14:15], 2.0, -v[20:21]
	;; [unrolled: 1-line block ×4, first 2 shown]
	ds_read_b128 v[12:15], v206 offset:34816
	ds_read_b128 v[16:19], v206
	ds_read_b128 v[20:23], v206 offset:20480
	ds_read_b128 v[24:27], v206 offset:4096
	;; [unrolled: 1-line block ×13, first 2 shown]
	s_waitcnt lgkmcnt(0)
	s_barrier
	buffer_load_dword v48, off, s[28:31], 0 offset:224 ; 4-byte Folded Reload
	s_waitcnt vmcnt(0)
	ds_write_b128 v48, v[0:3] offset:16
	v_add_f64 v[0:1], v[242:243], -v[61:62]
	v_add_f64 v[2:3], v[244:245], -v[63:64]
	ds_write_b128 v48, v[0:3] offset:32
	ds_write_b128 v48, v[4:7] offset:48
	v_add_f64 v[4:5], v[24:25], -v[32:33]
	v_fma_f64 v[244:245], v[244:245], 2.0, -v[2:3]
	v_add_f64 v[2:3], v[8:9], -v[12:13]
	v_fma_f64 v[242:243], v[242:243], 2.0, -v[0:1]
	v_add_f64 v[0:1], v[10:11], -v[14:15]
	v_add_f64 v[6:7], v[26:27], -v[34:35]
	v_fma_f64 v[12:13], v[24:25], 2.0, -v[4:5]
	buffer_load_dword v24, off, s[28:31], 0 offset:220 ; 4-byte Folded Reload
	v_fma_f64 v[8:9], v[8:9], 2.0, -v[2:3]
	v_fma_f64 v[10:11], v[10:11], 2.0, -v[0:1]
	v_add_f64 v[0:1], v[4:5], v[0:1]
	v_add_f64 v[2:3], v[6:7], -v[2:3]
	v_fma_f64 v[14:15], v[26:27], 2.0, -v[6:7]
	v_fma_f64 v[4:5], v[4:5], 2.0, -v[0:1]
	;; [unrolled: 1-line block ×3, first 2 shown]
	s_waitcnt vmcnt(0)
	ds_write_b128 v24, v[4:7] offset:16
	v_add_f64 v[4:5], v[12:13], -v[8:9]
	v_add_f64 v[6:7], v[14:15], -v[10:11]
	ds_write_b128 v24, v[4:7] offset:32
	ds_write_b128 v24, v[0:3] offset:48
	v_fma_f64 v[8:9], v[12:13], 2.0, -v[4:5]
	v_fma_f64 v[10:11], v[14:15], 2.0, -v[6:7]
	v_add_f64 v[12:13], v[16:17], -v[20:21]
	v_add_f64 v[14:15], v[18:19], -v[22:23]
	;; [unrolled: 1-line block ×4, first 2 shown]
	v_fma_f64 v[4:5], v[16:17], 2.0, -v[12:13]
	v_fma_f64 v[6:7], v[18:19], 2.0, -v[14:15]
	;; [unrolled: 1-line block ×4, first 2 shown]
	v_add_f64 v[0:1], v[4:5], -v[0:1]
	v_add_f64 v[2:3], v[6:7], -v[2:3]
	v_fma_f64 v[4:5], v[4:5], 2.0, -v[0:1]
	v_fma_f64 v[6:7], v[6:7], 2.0, -v[2:3]
	ds_write_b128 v223, v[4:7]
	v_add_f64 v[4:5], v[12:13], v[22:23]
	v_add_f64 v[6:7], v[14:15], -v[20:21]
	v_add_f64 v[20:21], v[44:45], -v[201:202]
	v_add_f64 v[22:23], v[46:47], -v[203:204]
	v_fma_f64 v[12:13], v[12:13], 2.0, -v[4:5]
	v_fma_f64 v[14:15], v[14:15], 2.0, -v[6:7]
	ds_write_b128 v223, v[12:15] offset:16
	ds_write_b128 v223, v[0:3] offset:32
	;; [unrolled: 1-line block ×5, first 2 shown]
	buffer_load_dword v24, off, s[28:31], 0 offset:212 ; 4-byte Folded Reload
	v_add_f64 v[8:9], v[28:29], -v[36:37]
	v_add_f64 v[10:11], v[30:31], -v[38:39]
	;; [unrolled: 1-line block ×4, first 2 shown]
	v_fma_f64 v[16:17], v[44:45], 2.0, -v[20:21]
	v_fma_f64 v[18:19], v[46:47], 2.0, -v[22:23]
	;; [unrolled: 1-line block ×6, first 2 shown]
	v_add_f64 v[0:1], v[4:5], -v[0:1]
	v_add_f64 v[2:3], v[6:7], -v[2:3]
	v_fma_f64 v[4:5], v[4:5], 2.0, -v[0:1]
	v_fma_f64 v[6:7], v[6:7], 2.0, -v[2:3]
	ds_write_b128 v223, v[4:7] offset:24576
	v_add_f64 v[4:5], v[8:9], v[14:15]
	v_add_f64 v[6:7], v[10:11], -v[12:13]
	v_add_f64 v[14:15], v[53:54], -v[235:236]
	;; [unrolled: 1-line block ×3, first 2 shown]
	v_fma_f64 v[8:9], v[8:9], 2.0, -v[4:5]
	v_fma_f64 v[10:11], v[10:11], 2.0, -v[6:7]
	s_waitcnt vmcnt(0)
	ds_write_b128 v24, v[8:11] offset:16
	v_fma_f64 v[8:9], v[53:54], 2.0, -v[14:15]
	v_fma_f64 v[10:11], v[55:56], 2.0, -v[12:13]
	v_add_f64 v[12:13], v[20:21], v[12:13]
	v_add_f64 v[14:15], v[22:23], -v[14:15]
	v_add_f64 v[8:9], v[16:17], -v[8:9]
	;; [unrolled: 1-line block ×3, first 2 shown]
	v_fma_f64 v[20:21], v[20:21], 2.0, -v[12:13]
	v_fma_f64 v[22:23], v[22:23], 2.0, -v[14:15]
	v_fma_f64 v[16:17], v[16:17], 2.0, -v[8:9]
	v_fma_f64 v[18:19], v[18:19], 2.0, -v[10:11]
	ds_write_b128 v24, v[0:3] offset:32
	ds_write_b128 v24, v[4:7] offset:48
	ds_write_b128 v223, v[16:19] offset:32768
	buffer_load_dword v0, off, s[28:31], 0 offset:208 ; 4-byte Folded Reload
	s_waitcnt vmcnt(0)
	ds_write_b128 v0, v[20:23] offset:16
	ds_write_b128 v0, v[8:11] offset:32
	;; [unrolled: 1-line block ×3, first 2 shown]
	s_waitcnt lgkmcnt(0)
	s_barrier
	ds_read_b128 v[0:3], v206 offset:10240
	ds_read_b128 v[4:7], v206 offset:12288
	;; [unrolled: 1-line block ×4, first 2 shown]
	s_waitcnt lgkmcnt(3)
	v_mul_f64 v[16:17], v[139:140], v[2:3]
	s_waitcnt lgkmcnt(2)
	v_mul_f64 v[20:21], v[139:140], v[6:7]
	v_mul_f64 v[22:23], v[139:140], v[4:5]
	;; [unrolled: 1-line block ×3, first 2 shown]
	s_waitcnt lgkmcnt(1)
	v_mul_f64 v[24:25], v[139:140], v[10:11]
	v_mul_f64 v[26:27], v[139:140], v[8:9]
	v_fma_f64 v[16:17], v[137:138], v[0:1], v[16:17]
	v_fma_f64 v[28:29], v[137:138], v[4:5], v[20:21]
	v_fma_f64 v[30:31], v[137:138], v[6:7], -v[22:23]
	s_waitcnt lgkmcnt(0)
	v_mul_f64 v[4:5], v[139:140], v[14:15]
	v_mul_f64 v[6:7], v[139:140], v[12:13]
	v_fma_f64 v[18:19], v[137:138], v[2:3], -v[18:19]
	ds_read_b128 v[0:3], v206 offset:18432
	v_fma_f64 v[32:33], v[137:138], v[8:9], v[24:25]
	v_fma_f64 v[34:35], v[137:138], v[10:11], -v[26:27]
	v_fma_f64 v[36:37], v[137:138], v[12:13], v[4:5]
	v_fma_f64 v[38:39], v[137:138], v[14:15], -v[6:7]
	ds_read_b128 v[4:7], v206 offset:20480
	s_waitcnt lgkmcnt(1)
	v_mul_f64 v[8:9], v[139:140], v[2:3]
	v_mul_f64 v[10:11], v[139:140], v[0:1]
	v_fma_f64 v[40:41], v[137:138], v[0:1], v[8:9]
	v_fma_f64 v[42:43], v[137:138], v[2:3], -v[10:11]
	s_waitcnt lgkmcnt(0)
	v_mul_f64 v[8:9], v[135:136], v[6:7]
	v_mul_f64 v[10:11], v[135:136], v[4:5]
	ds_read_b128 v[0:3], v206 offset:22528
	v_fma_f64 v[4:5], v[133:134], v[4:5], v[8:9]
	v_fma_f64 v[6:7], v[133:134], v[6:7], -v[10:11]
	s_waitcnt lgkmcnt(0)
	v_mul_f64 v[8:9], v[135:136], v[2:3]
	v_mul_f64 v[10:11], v[135:136], v[0:1]
	v_fma_f64 v[44:45], v[133:134], v[0:1], v[8:9]
	v_fma_f64 v[46:47], v[133:134], v[2:3], -v[10:11]
	ds_read_b128 v[0:3], v206 offset:24576
	s_waitcnt lgkmcnt(0)
	v_mul_f64 v[8:9], v[135:136], v[2:3]
	v_fma_f64 v[48:49], v[133:134], v[0:1], v[8:9]
	v_mul_f64 v[0:1], v[135:136], v[0:1]
	v_fma_f64 v[50:51], v[133:134], v[2:3], -v[0:1]
	ds_read_b128 v[0:3], v206 offset:26624
	s_waitcnt lgkmcnt(0)
	v_mul_f64 v[8:9], v[135:136], v[2:3]
	v_fma_f64 v[52:53], v[133:134], v[0:1], v[8:9]
	v_mul_f64 v[0:1], v[135:136], v[0:1]
	;; [unrolled: 6-line block ×4, first 2 shown]
	v_fma_f64 v[10:11], v[121:122], v[2:3], -v[0:1]
	ds_read_b128 v[0:3], v206 offset:32768
	s_waitcnt lgkmcnt(0)
	v_mul_f64 v[12:13], v[123:124], v[2:3]
	v_add_f64 v[203:204], v[18:19], -v[10:11]
	v_fma_f64 v[60:61], v[121:122], v[0:1], v[12:13]
	v_mul_f64 v[0:1], v[123:124], v[0:1]
	v_fma_f64 v[62:63], v[121:122], v[2:3], -v[0:1]
	ds_read_b128 v[0:3], v206 offset:34816
	s_waitcnt lgkmcnt(0)
	v_mul_f64 v[12:13], v[123:124], v[2:3]
	v_fma_f64 v[133:134], v[121:122], v[0:1], v[12:13]
	v_mul_f64 v[0:1], v[123:124], v[0:1]
	v_fma_f64 v[135:136], v[121:122], v[2:3], -v[0:1]
	ds_read_b128 v[0:3], v206 offset:36864
	s_waitcnt lgkmcnt(0)
	v_mul_f64 v[12:13], v[123:124], v[2:3]
	;; [unrolled: 6-line block ×3, first 2 shown]
	v_fma_f64 v[201:202], v[121:122], v[0:1], v[12:13]
	v_mul_f64 v[0:1], v[123:124], v[0:1]
	v_add_f64 v[123:124], v[16:17], -v[8:9]
	v_fma_f64 v[121:122], v[121:122], v[2:3], -v[0:1]
	ds_read_b128 v[0:3], v206
	s_waitcnt lgkmcnt(0)
	v_add_f64 v[24:25], v[0:1], -v[4:5]
	v_add_f64 v[26:27], v[2:3], -v[6:7]
	v_fma_f64 v[4:5], v[0:1], 2.0, -v[24:25]
	v_fma_f64 v[6:7], v[2:3], 2.0, -v[26:27]
	;; [unrolled: 1-line block ×4, first 2 shown]
	ds_read_b128 v[8:11], v206 offset:8192
	ds_read_b128 v[12:15], v206 offset:2048
	;; [unrolled: 1-line block ×4, first 2 shown]
	s_waitcnt lgkmcnt(0)
	s_barrier
	v_add_f64 v[0:1], v[4:5], -v[0:1]
	v_add_f64 v[2:3], v[6:7], -v[2:3]
	v_fma_f64 v[4:5], v[4:5], 2.0, -v[0:1]
	v_fma_f64 v[6:7], v[6:7], 2.0, -v[2:3]
	ds_write_b128 v239, v[4:7]
	v_add_f64 v[4:5], v[24:25], v[203:204]
	v_add_f64 v[6:7], v[26:27], -v[123:124]
	v_fma_f64 v[24:25], v[24:25], 2.0, -v[4:5]
	v_fma_f64 v[26:27], v[26:27], 2.0, -v[6:7]
	ds_write_b128 v239, v[24:27] offset:64
	ds_write_b128 v239, v[0:3] offset:128
	;; [unrolled: 1-line block ×3, first 2 shown]
	v_add_f64 v[24:25], v[12:13], -v[44:45]
	v_add_f64 v[26:27], v[14:15], -v[46:47]
	;; [unrolled: 1-line block ×4, first 2 shown]
	v_fma_f64 v[4:5], v[12:13], 2.0, -v[24:25]
	v_add_f64 v[12:13], v[28:29], -v[60:61]
	v_fma_f64 v[6:7], v[14:15], 2.0, -v[26:27]
	v_add_f64 v[14:15], v[30:31], -v[62:63]
	v_fma_f64 v[0:1], v[28:29], 2.0, -v[12:13]
	buffer_load_dword v28, off, s[28:31], 0 offset:216 ; 4-byte Folded Reload
	v_fma_f64 v[2:3], v[30:31], 2.0, -v[14:15]
	v_add_f64 v[30:31], v[22:23], -v[54:55]
	v_add_f64 v[0:1], v[4:5], -v[0:1]
	;; [unrolled: 1-line block ×3, first 2 shown]
	v_fma_f64 v[4:5], v[4:5], 2.0, -v[0:1]
	v_fma_f64 v[6:7], v[6:7], 2.0, -v[2:3]
	s_waitcnt vmcnt(0)
	ds_write_b128 v28, v[4:7]
	v_add_f64 v[4:5], v[24:25], v[14:15]
	v_add_f64 v[6:7], v[26:27], -v[12:13]
	v_fma_f64 v[12:13], v[24:25], 2.0, -v[4:5]
	v_fma_f64 v[14:15], v[26:27], 2.0, -v[6:7]
	ds_write_b128 v28, v[12:15] offset:64
	ds_write_b128 v28, v[0:3] offset:128
	;; [unrolled: 1-line block ×3, first 2 shown]
	v_add_f64 v[12:13], v[16:17], -v[48:49]
	v_add_f64 v[14:15], v[18:19], -v[50:51]
	;; [unrolled: 1-line block ×5, first 2 shown]
	v_fma_f64 v[4:5], v[16:17], 2.0, -v[12:13]
	v_fma_f64 v[6:7], v[18:19], 2.0, -v[14:15]
	v_add_f64 v[16:17], v[32:33], -v[133:134]
	v_add_f64 v[18:19], v[34:35], -v[135:136]
	v_fma_f64 v[0:1], v[32:33], 2.0, -v[16:17]
	v_fma_f64 v[2:3], v[34:35], 2.0, -v[18:19]
	;; [unrolled: 1-line block ×6, first 2 shown]
	v_add_f64 v[0:1], v[4:5], -v[0:1]
	v_add_f64 v[2:3], v[6:7], -v[2:3]
	v_fma_f64 v[4:5], v[4:5], 2.0, -v[0:1]
	v_fma_f64 v[6:7], v[6:7], 2.0, -v[2:3]
	ds_write_b128 v240, v[4:7]
	v_add_f64 v[4:5], v[12:13], v[18:19]
	v_add_f64 v[6:7], v[14:15], -v[16:17]
	v_fma_f64 v[12:13], v[12:13], 2.0, -v[4:5]
	v_fma_f64 v[14:15], v[14:15], 2.0, -v[6:7]
	ds_write_b128 v240, v[12:15] offset:64
	v_add_f64 v[14:15], v[36:37], -v[137:138]
	v_add_f64 v[12:13], v[38:39], -v[139:140]
	v_fma_f64 v[16:17], v[36:37], 2.0, -v[14:15]
	v_fma_f64 v[18:19], v[38:39], 2.0, -v[12:13]
	;; [unrolled: 1-line block ×4, first 2 shown]
	v_add_f64 v[12:13], v[28:29], v[12:13]
	v_add_f64 v[14:15], v[30:31], -v[14:15]
	v_add_f64 v[8:9], v[32:33], -v[16:17]
	v_add_f64 v[10:11], v[34:35], -v[18:19]
	v_add_f64 v[16:17], v[36:37], -v[20:21]
	v_add_f64 v[18:19], v[38:39], -v[22:23]
	v_add_f64 v[20:21], v[44:45], v[26:27]
	v_add_f64 v[22:23], v[46:47], -v[24:25]
	v_fma_f64 v[28:29], v[28:29], 2.0, -v[12:13]
	v_fma_f64 v[30:31], v[30:31], 2.0, -v[14:15]
	;; [unrolled: 1-line block ×8, first 2 shown]
	ds_write_b128 v240, v[0:3] offset:128
	ds_write_b128 v240, v[4:7] offset:192
	ds_write_b128 v241, v[24:27]
	ds_write_b128 v241, v[28:31] offset:64
	ds_write_b128 v241, v[8:11] offset:128
	;; [unrolled: 1-line block ×3, first 2 shown]
	ds_write_b128 v205, v[32:35]
	ds_write_b128 v205, v[36:39] offset:64
	ds_write_b128 v205, v[16:19] offset:128
	;; [unrolled: 1-line block ×3, first 2 shown]
	s_waitcnt lgkmcnt(0)
	s_barrier
	ds_read_b128 v[0:3], v206 offset:10240
	ds_read_b128 v[4:7], v206 offset:20480
	;; [unrolled: 1-line block ×6, first 2 shown]
	s_waitcnt lgkmcnt(5)
	v_mul_f64 v[34:35], v[131:132], v[0:1]
	s_waitcnt lgkmcnt(4)
	v_mul_f64 v[36:37], v[127:128], v[6:7]
	v_mul_f64 v[32:33], v[131:132], v[2:3]
	;; [unrolled: 1-line block ×3, first 2 shown]
	ds_read_b128 v[24:27], v206 offset:16384
	ds_read_b128 v[28:31], v206 offset:18432
	s_waitcnt lgkmcnt(5)
	v_mul_f64 v[42:43], v[127:128], v[8:9]
	s_waitcnt lgkmcnt(4)
	v_mul_f64 v[40:41], v[131:132], v[12:13]
	v_fma_f64 v[34:35], v[129:130], v[2:3], -v[34:35]
	v_mul_f64 v[2:3], v[127:128], v[10:11]
	v_fma_f64 v[36:37], v[125:126], v[4:5], v[36:37]
	s_waitcnt lgkmcnt(3)
	v_mul_f64 v[4:5], v[131:132], v[18:19]
	v_fma_f64 v[32:33], v[129:130], v[0:1], v[32:33]
	v_mul_f64 v[0:1], v[131:132], v[14:15]
	v_fma_f64 v[38:39], v[125:126], v[6:7], -v[38:39]
	s_waitcnt lgkmcnt(1)
	v_mul_f64 v[6:7], v[131:132], v[26:27]
	v_fma_f64 v[42:43], v[125:126], v[10:11], -v[42:43]
	v_fma_f64 v[46:47], v[125:126], v[8:9], v[2:3]
	v_mul_f64 v[8:9], v[131:132], v[24:25]
	v_fma_f64 v[48:49], v[129:130], v[16:17], v[4:5]
	s_waitcnt lgkmcnt(0)
	v_mul_f64 v[4:5], v[131:132], v[30:31]
	v_fma_f64 v[44:45], v[129:130], v[12:13], v[0:1]
	v_mul_f64 v[12:13], v[127:128], v[22:23]
	v_mul_f64 v[0:1], v[131:132], v[16:17]
	;; [unrolled: 1-line block ×3, first 2 shown]
	v_fma_f64 v[52:53], v[129:130], v[24:25], v[6:7]
	v_fma_f64 v[54:55], v[129:130], v[26:27], -v[8:9]
	v_mul_f64 v[8:9], v[127:128], v[20:21]
	v_fma_f64 v[28:29], v[129:130], v[28:29], v[4:5]
	ds_read_b128 v[4:7], v206 offset:28672
	v_fma_f64 v[56:57], v[125:126], v[20:21], v[12:13]
	v_fma_f64 v[50:51], v[129:130], v[18:19], -v[0:1]
	ds_read_b128 v[0:3], v206 offset:26624
	v_fma_f64 v[40:41], v[129:130], v[14:15], -v[40:41]
	s_waitcnt lgkmcnt(1)
	v_mul_f64 v[12:13], v[127:128], v[4:5]
	v_fma_f64 v[58:59], v[125:126], v[22:23], -v[8:9]
	v_mul_f64 v[8:9], v[127:128], v[6:7]
	v_fma_f64 v[30:31], v[129:130], v[30:31], -v[10:11]
	v_fma_f64 v[123:124], v[125:126], v[6:7], -v[12:13]
	v_fma_f64 v[121:122], v[125:126], v[4:5], v[8:9]
	ds_read_b128 v[4:7], v206 offset:32768
	s_waitcnt lgkmcnt(1)
	v_mul_f64 v[10:11], v[127:128], v[2:3]
	v_mul_f64 v[14:15], v[127:128], v[0:1]
	v_fma_f64 v[60:61], v[125:126], v[0:1], v[10:11]
	v_fma_f64 v[62:63], v[125:126], v[2:3], -v[14:15]
	ds_read_b128 v[0:3], v206 offset:30720
	s_waitcnt lgkmcnt(0)
	v_mul_f64 v[10:11], v[115:116], v[2:3]
	v_mul_f64 v[8:9], v[115:116], v[0:1]
	v_fma_f64 v[10:11], v[113:114], v[0:1], v[10:11]
	v_fma_f64 v[8:9], v[113:114], v[2:3], -v[8:9]
	v_mul_f64 v[0:1], v[115:116], v[6:7]
	v_mul_f64 v[2:3], v[115:116], v[4:5]
	v_fma_f64 v[125:126], v[113:114], v[4:5], v[0:1]
	v_fma_f64 v[127:128], v[113:114], v[6:7], -v[2:3]
	ds_read_b128 v[0:3], v206 offset:34816
	s_waitcnt lgkmcnt(0)
	v_mul_f64 v[4:5], v[115:116], v[2:3]
	v_fma_f64 v[129:130], v[113:114], v[0:1], v[4:5]
	v_mul_f64 v[0:1], v[115:116], v[0:1]
	v_fma_f64 v[131:132], v[113:114], v[2:3], -v[0:1]
	ds_read_b128 v[0:3], v206 offset:36864
	s_waitcnt lgkmcnt(0)
	v_mul_f64 v[4:5], v[115:116], v[2:3]
	v_fma_f64 v[133:134], v[113:114], v[0:1], v[4:5]
	v_mul_f64 v[0:1], v[115:116], v[0:1]
	;; [unrolled: 6-line block ×3, first 2 shown]
	v_fma_f64 v[113:114], v[113:114], v[2:3], -v[0:1]
	ds_read_b128 v[0:3], v206
	s_waitcnt lgkmcnt(0)
	v_add_f64 v[24:25], v[0:1], -v[36:37]
	v_add_f64 v[26:27], v[2:3], -v[38:39]
	;; [unrolled: 1-line block ×4, first 2 shown]
	ds_read_b128 v[8:11], v206 offset:8192
	ds_read_b128 v[12:15], v206 offset:2048
	;; [unrolled: 1-line block ×4, first 2 shown]
	s_waitcnt lgkmcnt(0)
	s_barrier
	v_fma_f64 v[4:5], v[0:1], 2.0, -v[24:25]
	v_fma_f64 v[6:7], v[2:3], 2.0, -v[26:27]
	;; [unrolled: 1-line block ×4, first 2 shown]
	v_add_f64 v[34:35], v[18:19], -v[58:59]
	v_add_f64 v[58:59], v[10:11], -v[123:124]
	v_add_f64 v[0:1], v[4:5], -v[0:1]
	v_add_f64 v[2:3], v[6:7], -v[2:3]
	v_fma_f64 v[18:19], v[18:19], 2.0, -v[34:35]
	v_fma_f64 v[4:5], v[4:5], 2.0, -v[0:1]
	;; [unrolled: 1-line block ×3, first 2 shown]
	ds_write_b128 v229, v[4:7]
	v_add_f64 v[4:5], v[24:25], v[38:39]
	v_add_f64 v[6:7], v[26:27], -v[36:37]
	v_add_f64 v[36:37], v[52:53], -v[133:134]
	;; [unrolled: 1-line block ×3, first 2 shown]
	v_fma_f64 v[24:25], v[24:25], 2.0, -v[4:5]
	v_fma_f64 v[26:27], v[26:27], 2.0, -v[6:7]
	ds_write_b128 v229, v[24:27] offset:256
	ds_write_b128 v229, v[0:3] offset:512
	;; [unrolled: 1-line block ×3, first 2 shown]
	buffer_load_dword v32, off, s[28:31], 0 offset:204 ; 4-byte Folded Reload
	v_add_f64 v[24:25], v[12:13], -v[46:47]
	v_add_f64 v[26:27], v[14:15], -v[42:43]
	;; [unrolled: 1-line block ×4, first 2 shown]
	v_fma_f64 v[4:5], v[12:13], 2.0, -v[24:25]
	v_fma_f64 v[6:7], v[14:15], 2.0, -v[26:27]
	v_add_f64 v[12:13], v[44:45], -v[125:126]
	v_add_f64 v[14:15], v[40:41], -v[127:128]
	v_fma_f64 v[62:63], v[30:31], 2.0, -v[42:43]
	v_add_f64 v[30:31], v[46:47], -v[36:37]
	v_fma_f64 v[0:1], v[44:45], 2.0, -v[12:13]
	v_fma_f64 v[2:3], v[40:41], 2.0, -v[14:15]
	v_add_f64 v[44:45], v[20:21], -v[60:61]
	v_add_f64 v[40:41], v[28:29], -v[137:138]
	;; [unrolled: 1-line block ×4, first 2 shown]
	v_fma_f64 v[60:61], v[28:29], 2.0, -v[40:41]
	v_add_f64 v[28:29], v[44:45], v[38:39]
	v_fma_f64 v[4:5], v[4:5], 2.0, -v[0:1]
	v_fma_f64 v[6:7], v[6:7], 2.0, -v[2:3]
	s_waitcnt vmcnt(0)
	ds_write_b128 v32, v[4:7]
	v_add_f64 v[4:5], v[24:25], v[14:15]
	v_add_f64 v[6:7], v[26:27], -v[12:13]
	v_mov_b32_e32 v64, v32
	v_fma_f64 v[12:13], v[24:25], 2.0, -v[4:5]
	v_fma_f64 v[14:15], v[26:27], 2.0, -v[6:7]
	v_add_f64 v[26:27], v[48:49], -v[129:130]
	v_add_f64 v[24:25], v[50:51], -v[131:132]
	ds_write_b128 v32, v[12:15] offset:256
	ds_write_b128 v64, v[0:3] offset:512
	;; [unrolled: 1-line block ×3, first 2 shown]
	buffer_load_dword v0, off, s[28:31], 0 offset:196 ; 4-byte Folded Reload
	v_add_f64 v[32:33], v[16:17], -v[56:57]
	v_fma_f64 v[12:13], v[48:49], 2.0, -v[26:27]
	v_fma_f64 v[14:15], v[50:51], 2.0, -v[24:25]
	;; [unrolled: 1-line block ×6, first 2 shown]
	v_add_f64 v[26:27], v[34:35], -v[26:27]
	v_fma_f64 v[16:17], v[16:17], 2.0, -v[32:33]
	v_add_f64 v[24:25], v[32:33], v[24:25]
	v_add_f64 v[14:15], v[18:19], -v[14:15]
	v_add_f64 v[56:57], v[8:9], -v[121:122]
	v_fma_f64 v[54:55], v[10:11], 2.0, -v[58:59]
	v_add_f64 v[20:21], v[48:49], -v[20:21]
	v_add_f64 v[22:23], v[50:51], -v[22:23]
	v_fma_f64 v[10:11], v[34:35], 2.0, -v[26:27]
	v_add_f64 v[12:13], v[16:17], -v[12:13]
	v_add_f64 v[38:39], v[58:59], -v[40:41]
	v_fma_f64 v[18:19], v[18:19], 2.0, -v[14:15]
	v_fma_f64 v[52:53], v[8:9], 2.0, -v[56:57]
	v_fma_f64 v[8:9], v[32:33], 2.0, -v[24:25]
	v_add_f64 v[36:37], v[56:57], v[42:43]
	v_fma_f64 v[40:41], v[48:49], 2.0, -v[20:21]
	v_fma_f64 v[42:43], v[50:51], 2.0, -v[22:23]
	;; [unrolled: 1-line block ×5, first 2 shown]
	s_waitcnt vmcnt(0)
	ds_write_b128 v0, v[16:19]
	ds_write_b128 v0, v[8:11] offset:256
	ds_write_b128 v0, v[12:15] offset:512
	;; [unrolled: 1-line block ×3, first 2 shown]
	ds_write_b128 v255, v[40:43]
	ds_write_b128 v255, v[44:47] offset:256
	ds_write_b128 v255, v[20:23] offset:512
	;; [unrolled: 1-line block ×3, first 2 shown]
	buffer_load_dword v0, off, s[28:31], 0 offset:200 ; 4-byte Folded Reload
	v_add_f64 v[32:33], v[52:53], -v[60:61]
	v_add_f64 v[34:35], v[54:55], -v[62:63]
	v_fma_f64 v[49:50], v[52:53], 2.0, -v[32:33]
	v_fma_f64 v[51:52], v[54:55], 2.0, -v[34:35]
	;; [unrolled: 1-line block ×4, first 2 shown]
	s_waitcnt vmcnt(0)
	ds_write_b128 v0, v[49:52]
	ds_write_b128 v0, v[53:56] offset:256
	ds_write_b128 v0, v[32:35] offset:512
	;; [unrolled: 1-line block ×3, first 2 shown]
	s_waitcnt lgkmcnt(0)
	s_barrier
	ds_read_b128 v[0:3], v206 offset:4096
	ds_read_b128 v[4:7], v206 offset:6144
	;; [unrolled: 1-line block ×8, first 2 shown]
	s_waitcnt lgkmcnt(5)
	v_mul_f64 v[52:53], v[107:108], v[10:11]
	v_mul_f64 v[54:55], v[107:108], v[8:9]
	s_waitcnt lgkmcnt(3)
	v_mul_f64 v[56:57], v[103:104], v[18:19]
	v_mul_f64 v[58:59], v[103:104], v[16:17]
	v_mul_f64 v[60:61], v[119:120], v[4:5]
	v_mul_f64 v[48:49], v[119:120], v[2:3]
	v_mul_f64 v[50:51], v[119:120], v[0:1]
	ds_read_b128 v[32:35], v206 offset:20480
	ds_read_b128 v[36:39], v206 offset:22528
	v_fma_f64 v[52:53], v[105:106], v[8:9], v[52:53]
	v_mul_f64 v[8:9], v[119:120], v[6:7]
	v_fma_f64 v[54:55], v[105:106], v[10:11], -v[54:55]
	s_waitcnt lgkmcnt(3)
	v_mul_f64 v[10:11], v[87:88], v[26:27]
	ds_read_b128 v[40:43], v206 offset:24576
	ds_read_b128 v[44:47], v206 offset:26624
	v_fma_f64 v[16:17], v[101:102], v[16:17], v[56:57]
	v_fma_f64 v[18:19], v[101:102], v[18:19], -v[58:59]
	v_mul_f64 v[56:57], v[87:88], v[24:25]
	v_fma_f64 v[113:114], v[117:118], v[6:7], -v[60:61]
	v_fma_f64 v[115:116], v[117:118], v[4:5], v[8:9]
	v_mul_f64 v[8:9], v[107:108], v[14:15]
	v_mul_f64 v[58:59], v[107:108], v[12:13]
	s_waitcnt lgkmcnt(3)
	v_mul_f64 v[60:61], v[111:112], v[34:35]
	v_fma_f64 v[48:49], v[117:118], v[0:1], v[48:49]
	v_fma_f64 v[50:51], v[117:118], v[2:3], -v[50:51]
	ds_read_b128 v[0:3], v206 offset:28672
	v_fma_f64 v[24:25], v[85:86], v[24:25], v[10:11]
	v_mul_f64 v[10:11], v[111:112], v[32:33]
	v_fma_f64 v[62:63], v[105:106], v[12:13], v[8:9]
	v_mul_f64 v[12:13], v[103:104], v[22:23]
	s_waitcnt lgkmcnt(2)
	v_mul_f64 v[8:9], v[99:100], v[40:41]
	v_fma_f64 v[26:27], v[85:86], v[26:27], -v[56:57]
	v_mul_f64 v[56:57], v[99:100], v[42:43]
	v_fma_f64 v[105:106], v[105:106], v[14:15], -v[58:59]
	v_fma_f64 v[32:33], v[109:110], v[32:33], v[60:61]
	s_waitcnt lgkmcnt(0)
	v_mul_f64 v[14:15], v[91:92], v[2:3]
	v_mul_f64 v[58:59], v[103:104], v[20:21]
	;; [unrolled: 1-line block ×3, first 2 shown]
	v_fma_f64 v[103:104], v[101:102], v[20:21], v[12:13]
	v_mul_f64 v[20:21], v[87:88], v[28:29]
	v_fma_f64 v[34:35], v[109:110], v[34:35], -v[10:11]
	v_fma_f64 v[42:43], v[97:98], v[42:43], -v[8:9]
	ds_read_b128 v[8:11], v206 offset:32768
	v_fma_f64 v[40:41], v[97:98], v[40:41], v[56:57]
	v_mul_f64 v[12:13], v[87:88], v[30:31]
	v_fma_f64 v[101:102], v[101:102], v[22:23], -v[58:59]
	v_fma_f64 v[58:59], v[89:90], v[0:1], v[14:15]
	v_fma_f64 v[60:61], v[89:90], v[2:3], -v[60:61]
	ds_read_b128 v[0:3], v206 offset:34816
	s_waitcnt lgkmcnt(1)
	v_mul_f64 v[22:23], v[83:84], v[10:11]
	v_mul_f64 v[56:57], v[83:84], v[8:9]
	v_fma_f64 v[117:118], v[85:86], v[30:31], -v[20:21]
	v_mul_f64 v[20:21], v[111:112], v[36:37]
	ds_read_b128 v[4:7], v206 offset:30720
	v_mul_f64 v[87:88], v[111:112], v[38:39]
	v_fma_f64 v[107:108], v[85:86], v[28:29], v[12:13]
	v_mul_f64 v[30:31], v[99:100], v[46:47]
	v_fma_f64 v[22:23], v[81:82], v[8:9], v[22:23]
	v_fma_f64 v[28:29], v[81:82], v[10:11], -v[56:57]
	ds_read_b128 v[8:11], v206
	v_mul_f64 v[56:57], v[99:100], v[44:45]
	v_fma_f64 v[85:86], v[109:110], v[38:39], -v[20:21]
	s_waitcnt lgkmcnt(1)
	v_mul_f64 v[20:21], v[91:92], v[6:7]
	v_fma_f64 v[99:100], v[109:110], v[36:37], v[87:88]
	v_mul_f64 v[36:37], v[91:92], v[4:5]
	v_fma_f64 v[44:45], v[97:98], v[44:45], v[30:31]
	s_waitcnt lgkmcnt(0)
	v_add_f64 v[38:39], v[8:9], v[52:53]
	ds_read_b128 v[12:15], v206 offset:36864
	v_fma_f64 v[46:47], v[97:98], v[46:47], -v[56:57]
	v_add_f64 v[56:57], v[24:25], v[40:41]
	v_mul_f64 v[97:98], v[83:84], v[2:3]
	v_fma_f64 v[91:92], v[89:90], v[4:5], v[20:21]
	v_mul_f64 v[20:21], v[83:84], v[0:1]
	v_fma_f64 v[87:88], v[89:90], v[6:7], -v[36:37]
	ds_read_b128 v[4:7], v206 offset:38912
	s_waitcnt lgkmcnt(1)
	v_mul_f64 v[30:31], v[95:96], v[12:13]
	v_add_f64 v[36:37], v[38:39], v[24:25]
	v_fma_f64 v[38:39], v[56:57], -0.5, v[8:9]
	v_add_f64 v[56:57], v[54:55], -v[28:29]
	v_fma_f64 v[89:90], v[81:82], v[0:1], v[97:98]
	s_waitcnt lgkmcnt(0)
	v_mul_f64 v[0:1], v[95:96], v[6:7]
	v_fma_f64 v[81:82], v[81:82], v[2:3], -v[20:21]
	v_add_f64 v[2:3], v[52:53], v[22:23]
	v_mul_f64 v[111:112], v[95:96], v[14:15]
	v_fma_f64 v[14:15], v[93:94], v[14:15], -v[30:31]
	v_mul_f64 v[30:31], v[95:96], v[4:5]
	v_add_f64 v[20:21], v[36:37], v[40:41]
	v_fma_f64 v[36:37], v[56:57], s[18:19], v[38:39]
	v_add_f64 v[95:96], v[26:27], -v[42:43]
	v_add_f64 v[97:98], v[52:53], -v[24:25]
	v_fma_f64 v[109:110], v[93:94], v[4:5], v[0:1]
	v_add_f64 v[0:1], v[22:23], -v[40:41]
	v_fma_f64 v[4:5], v[56:57], s[8:9], v[38:39]
	v_fma_f64 v[2:3], v[2:3], -0.5, v[8:9]
	v_fma_f64 v[83:84], v[93:94], v[6:7], -v[30:31]
	v_add_f64 v[8:9], v[26:27], v[42:43]
	v_fma_f64 v[6:7], v[95:96], s[16:17], v[36:37]
	v_add_f64 v[36:37], v[24:25], -v[52:53]
	v_add_f64 v[38:39], v[40:41], -v[22:23]
	v_add_f64 v[0:1], v[97:98], v[0:1]
	v_fma_f64 v[4:5], v[95:96], s[12:13], v[4:5]
	v_fma_f64 v[30:31], v[95:96], s[8:9], v[2:3]
	v_fma_f64 v[2:3], v[95:96], s[18:19], v[2:3]
	v_fma_f64 v[12:13], v[93:94], v[12:13], v[111:112]
	v_add_f64 v[20:21], v[20:21], v[22:23]
	v_add_f64 v[93:94], v[10:11], v[54:55]
	v_fma_f64 v[8:9], v[8:9], -0.5, v[10:11]
	v_add_f64 v[22:23], v[52:53], -v[22:23]
	v_fma_f64 v[52:53], v[0:1], s[14:15], v[6:7]
	v_fma_f64 v[95:96], v[0:1], s[14:15], v[4:5]
	v_add_f64 v[4:5], v[36:37], v[38:39]
	v_add_f64 v[6:7], v[54:55], v[28:29]
	v_fma_f64 v[2:3], v[56:57], s[12:13], v[2:3]
	v_fma_f64 v[0:1], v[56:57], s[16:17], v[30:31]
	v_add_f64 v[30:31], v[93:94], v[26:27]
	v_fma_f64 v[36:37], v[22:23], s[8:9], v[8:9]
	v_add_f64 v[24:25], v[24:25], -v[40:41]
	v_add_f64 v[38:39], v[54:55], -v[26:27]
	;; [unrolled: 1-line block ×3, first 2 shown]
	v_fma_f64 v[6:7], v[6:7], -0.5, v[10:11]
	v_fma_f64 v[93:94], v[4:5], s[14:15], v[2:3]
	v_add_f64 v[2:3], v[48:49], v[16:17]
	v_fma_f64 v[8:9], v[22:23], s[18:19], v[8:9]
	v_fma_f64 v[56:57], v[4:5], s[14:15], v[0:1]
	v_add_f64 v[0:1], v[30:31], v[42:43]
	v_fma_f64 v[4:5], v[24:25], s[12:13], v[36:37]
	v_add_f64 v[10:11], v[38:39], v[40:41]
	v_fma_f64 v[30:31], v[24:25], s[18:19], v[6:7]
	v_add_f64 v[26:27], v[26:27], -v[54:55]
	v_add_f64 v[36:37], v[42:43], -v[28:29]
	v_add_f64 v[2:3], v[2:3], v[32:33]
	v_fma_f64 v[8:9], v[24:25], s[16:17], v[8:9]
	v_fma_f64 v[6:7], v[24:25], s[8:9], v[6:7]
	v_add_f64 v[24:25], v[32:33], v[58:59]
	v_add_f64 v[28:29], v[0:1], v[28:29]
	v_fma_f64 v[38:39], v[10:11], s[14:15], v[4:5]
	v_fma_f64 v[0:1], v[22:23], s[12:13], v[30:31]
	v_add_f64 v[4:5], v[26:27], v[36:37]
	v_add_f64 v[2:3], v[2:3], v[58:59]
	v_fma_f64 v[42:43], v[10:11], s[14:15], v[8:9]
	v_fma_f64 v[6:7], v[22:23], s[16:17], v[6:7]
	v_add_f64 v[8:9], v[16:17], -v[32:33]
	v_add_f64 v[10:11], v[12:13], -v[58:59]
	v_fma_f64 v[22:23], v[24:25], -0.5, v[48:49]
	v_add_f64 v[24:25], v[16:17], v[12:13]
	v_fma_f64 v[30:31], v[4:5], s[14:15], v[0:1]
	v_add_f64 v[0:1], v[34:35], v[60:61]
	v_add_f64 v[36:37], v[2:3], v[12:13]
	;; [unrolled: 1-line block ×3, first 2 shown]
	v_fma_f64 v[54:55], v[4:5], s[14:15], v[6:7]
	v_add_f64 v[4:5], v[8:9], v[10:11]
	v_add_f64 v[8:9], v[32:33], -v[16:17]
	v_fma_f64 v[6:7], v[24:25], -0.5, v[48:49]
	v_add_f64 v[10:11], v[58:59], -v[12:13]
	v_fma_f64 v[0:1], v[0:1], -0.5, v[50:51]
	v_add_f64 v[24:25], v[32:33], -v[58:59]
	v_add_f64 v[32:33], v[18:19], -v[34:35]
	;; [unrolled: 1-line block ×3, first 2 shown]
	v_fma_f64 v[2:3], v[2:3], -0.5, v[50:51]
	v_add_f64 v[48:49], v[34:35], -v[18:19]
	v_add_f64 v[58:59], v[60:61], -v[14:15]
	;; [unrolled: 1-line block ×4, first 2 shown]
	v_add_f64 v[18:19], v[50:51], v[18:19]
	v_add_f64 v[50:51], v[34:35], -v[60:61]
	v_add_f64 v[32:33], v[32:33], v[40:41]
	v_fma_f64 v[40:41], v[24:25], s[18:19], v[2:3]
	v_fma_f64 v[2:3], v[24:25], s[8:9], v[2:3]
	v_add_f64 v[48:49], v[48:49], v[58:59]
	v_fma_f64 v[58:59], v[12:13], s[8:9], v[0:1]
	v_fma_f64 v[97:98], v[12:13], s[18:19], v[0:1]
	;; [unrolled: 1-line block ×6, first 2 shown]
	v_add_f64 v[18:19], v[18:19], v[34:35]
	v_add_f64 v[8:9], v[8:9], v[10:11]
	v_fma_f64 v[58:59], v[24:25], s[12:13], v[58:59]
	v_fma_f64 v[10:11], v[26:27], s[8:9], v[22:23]
	v_fma_f64 v[24:25], v[24:25], s[16:17], v[97:98]
	v_fma_f64 v[16:17], v[50:51], s[16:17], v[16:17]
	v_fma_f64 v[12:13], v[12:13], s[16:17], v[2:3]
	v_fma_f64 v[22:23], v[26:27], s[16:17], v[111:112]
	v_fma_f64 v[6:7], v[26:27], s[12:13], v[6:7]
	v_fma_f64 v[26:27], v[48:49], s[14:15], v[40:41]
	v_fma_f64 v[34:35], v[32:33], s[14:15], v[58:59]
	v_fma_f64 v[10:11], v[50:51], s[12:13], v[10:11]
	v_add_f64 v[18:19], v[18:19], v[60:61]
	v_fma_f64 v[24:25], v[32:33], s[14:15], v[24:25]
	v_fma_f64 v[16:17], v[4:5], s[14:15], v[16:17]
	;; [unrolled: 1-line block ×5, first 2 shown]
	v_mul_f64 v[32:33], v[34:35], s[16:17]
	v_mul_f64 v[8:9], v[26:27], s[18:19]
	v_fma_f64 v[10:11], v[4:5], s[14:15], v[10:11]
	v_add_f64 v[14:15], v[18:19], v[14:15]
	v_mul_f64 v[18:19], v[24:25], s[16:17]
	v_mul_f64 v[34:35], v[34:35], s[20:21]
	ds_read_b128 v[0:3], v206 offset:2048
	v_mul_f64 v[40:41], v[12:13], s[18:19]
	v_add_f64 v[4:5], v[20:21], v[36:37]
	v_fma_f64 v[32:33], v[16:17], s[20:21], v[32:33]
	v_fma_f64 v[48:49], v[22:23], s[14:15], v[8:9]
	v_mul_f64 v[26:27], v[26:27], s[14:15]
	v_mul_f64 v[50:51], v[12:13], s[22:23]
	;; [unrolled: 1-line block ×3, first 2 shown]
	v_fma_f64 v[58:59], v[10:11], s[24:25], v[18:19]
	v_fma_f64 v[18:19], v[16:17], s[12:13], v[34:35]
	s_waitcnt lgkmcnt(0)
	v_add_f64 v[97:98], v[0:1], v[62:63]
	v_add_f64 v[20:21], v[20:21], -v[36:37]
	v_add_f64 v[36:37], v[107:108], v[44:45]
	v_fma_f64 v[40:41], v[6:7], s[22:23], v[40:41]
	v_add_f64 v[8:9], v[52:53], v[32:33]
	v_add_f64 v[12:13], v[56:57], v[48:49]
	v_fma_f64 v[34:35], v[22:23], s[8:9], v[26:27]
	v_fma_f64 v[50:51], v[6:7], s[8:9], v[50:51]
	;; [unrolled: 1-line block ×3, first 2 shown]
	v_add_f64 v[10:11], v[38:39], v[18:19]
	v_add_f64 v[24:25], v[52:53], -v[32:33]
	v_add_f64 v[26:27], v[38:39], -v[18:19]
	v_add_f64 v[38:39], v[97:98], v[107:108]
	v_fma_f64 v[52:53], v[36:37], -0.5, v[0:1]
	v_add_f64 v[97:98], v[105:106], -v[81:82]
	v_add_f64 v[32:33], v[56:57], -v[48:49]
	v_add_f64 v[48:49], v[62:63], v[89:90]
	v_add_f64 v[16:17], v[93:94], v[40:41]
	;; [unrolled: 1-line block ×3, first 2 shown]
	v_add_f64 v[22:23], v[28:29], -v[14:15]
	v_add_f64 v[28:29], v[95:96], v[58:59]
	v_add_f64 v[18:19], v[54:55], v[50:51]
	v_add_f64 v[36:37], v[93:94], -v[40:41]
	v_add_f64 v[40:41], v[95:96], -v[58:59]
	v_add_f64 v[56:57], v[38:39], v[44:45]
	v_fma_f64 v[58:59], v[97:98], s[18:19], v[52:53]
	v_add_f64 v[38:39], v[54:55], -v[50:51]
	v_add_f64 v[50:51], v[117:118], -v[46:47]
	v_fma_f64 v[0:1], v[48:49], -0.5, v[0:1]
	v_add_f64 v[48:49], v[62:63], -v[107:108]
	v_add_f64 v[54:55], v[89:90], -v[44:45]
	v_fma_f64 v[52:53], v[97:98], s[8:9], v[52:53]
	v_add_f64 v[14:15], v[30:31], v[34:35]
	v_add_f64 v[34:35], v[30:31], -v[34:35]
	v_add_f64 v[30:31], v[42:43], v[60:61]
	v_add_f64 v[42:43], v[42:43], -v[60:61]
	v_fma_f64 v[58:59], v[50:51], s[16:17], v[58:59]
	v_fma_f64 v[60:61], v[50:51], s[8:9], v[0:1]
	v_add_f64 v[48:49], v[48:49], v[54:55]
	v_add_f64 v[54:55], v[107:108], -v[62:63]
	v_fma_f64 v[52:53], v[50:51], s[12:13], v[52:53]
	v_fma_f64 v[0:1], v[50:51], s[18:19], v[0:1]
	v_add_f64 v[50:51], v[44:45], -v[89:90]
	v_add_f64 v[56:57], v[56:57], v[89:90]
	v_add_f64 v[62:63], v[62:63], -v[89:90]
	v_add_f64 v[89:90], v[117:118], v[46:47]
	v_fma_f64 v[93:94], v[48:49], s[14:15], v[58:59]
	v_add_f64 v[44:45], v[107:108], -v[44:45]
	v_fma_f64 v[111:112], v[48:49], s[14:15], v[52:53]
	v_add_f64 v[48:49], v[105:106], v[81:82]
	v_add_f64 v[50:51], v[54:55], v[50:51]
	;; [unrolled: 1-line block ×3, first 2 shown]
	v_fma_f64 v[52:53], v[97:98], s[16:17], v[60:61]
	v_fma_f64 v[89:90], v[89:90], -0.5, v[2:3]
	v_fma_f64 v[0:1], v[97:98], s[12:13], v[0:1]
	v_add_f64 v[60:61], v[105:106], -v[117:118]
	v_fma_f64 v[2:3], v[48:49], -0.5, v[2:3]
	v_add_f64 v[48:49], v[81:82], -v[46:47]
	v_add_f64 v[54:55], v[54:55], v[117:118]
	v_fma_f64 v[95:96], v[50:51], s[14:15], v[52:53]
	v_fma_f64 v[58:59], v[62:63], s[8:9], v[89:90]
	;; [unrolled: 1-line block ×4, first 2 shown]
	v_add_f64 v[52:53], v[115:116], v[103:104]
	v_add_f64 v[48:49], v[60:61], v[48:49]
	;; [unrolled: 1-line block ×4, first 2 shown]
	v_fma_f64 v[50:51], v[44:45], s[12:13], v[58:59]
	v_fma_f64 v[58:59], v[44:45], s[16:17], v[89:90]
	;; [unrolled: 1-line block ×3, first 2 shown]
	v_add_f64 v[89:90], v[117:118], -v[105:106]
	v_add_f64 v[46:47], v[46:47], -v[81:82]
	v_fma_f64 v[2:3], v[44:45], s[8:9], v[2:3]
	v_add_f64 v[44:45], v[52:53], v[99:100]
	v_fma_f64 v[52:53], v[54:55], -0.5, v[115:116]
	v_add_f64 v[54:55], v[101:102], -v[83:84]
	v_add_f64 v[105:106], v[0:1], v[81:82]
	v_fma_f64 v[107:108], v[48:49], s[14:15], v[50:51]
	v_fma_f64 v[0:1], v[62:63], s[12:13], v[60:61]
	v_add_f64 v[46:47], v[89:90], v[46:47]
	v_fma_f64 v[60:61], v[48:49], s[14:15], v[58:59]
	v_fma_f64 v[2:3], v[62:63], s[16:17], v[2:3]
	v_add_f64 v[44:45], v[44:45], v[91:92]
	v_fma_f64 v[48:49], v[54:55], s[18:19], v[52:53]
	v_add_f64 v[50:51], v[85:86], -v[87:88]
	v_add_f64 v[58:59], v[103:104], -v[99:100]
	;; [unrolled: 1-line block ×3, first 2 shown]
	v_add_f64 v[81:82], v[103:104], v[109:110]
	v_fma_f64 v[52:53], v[54:55], s[8:9], v[52:53]
	v_fma_f64 v[117:118], v[46:47], s[14:15], v[0:1]
	;; [unrolled: 1-line block ×3, first 2 shown]
	v_add_f64 v[46:47], v[44:45], v[109:110]
	v_fma_f64 v[0:1], v[50:51], s[16:17], v[48:49]
	v_add_f64 v[89:90], v[99:100], -v[103:104]
	v_add_f64 v[2:3], v[58:59], v[62:63]
	v_fma_f64 v[44:45], v[81:82], -0.5, v[115:116]
	v_fma_f64 v[48:49], v[50:51], s[12:13], v[52:53]
	v_add_f64 v[52:53], v[101:102], -v[85:86]
	v_add_f64 v[58:59], v[83:84], -v[87:88]
	;; [unrolled: 1-line block ×4, first 2 shown]
	v_add_f64 v[103:104], v[113:114], v[101:102]
	v_add_f64 v[91:92], v[91:92], -v[109:110]
	v_fma_f64 v[99:100], v[50:51], s[8:9], v[44:45]
	v_fma_f64 v[44:45], v[50:51], s[18:19], v[44:45]
	v_add_f64 v[50:51], v[85:86], v[87:88]
	v_add_f64 v[52:53], v[52:53], v[58:59]
	;; [unrolled: 1-line block ×3, first 2 shown]
	v_add_f64 v[101:102], v[85:86], -v[101:102]
	v_add_f64 v[85:86], v[103:104], v[85:86]
	v_add_f64 v[103:104], v[87:88], -v[83:84]
	v_add_f64 v[89:90], v[89:90], v[91:92]
	v_fma_f64 v[44:45], v[54:55], s[12:13], v[44:45]
	v_fma_f64 v[50:51], v[50:51], -0.5, v[113:114]
	v_fma_f64 v[58:59], v[58:59], -0.5, v[113:114]
	v_add_f64 v[101:102], v[101:102], v[103:104]
	v_fma_f64 v[109:110], v[62:63], s[8:9], v[50:51]
	v_fma_f64 v[50:51], v[62:63], s[18:19], v[50:51]
	;; [unrolled: 1-line block ×10, first 2 shown]
	v_add_f64 v[54:55], v[85:86], v[87:88]
	v_fma_f64 v[2:3], v[2:3], s[14:15], v[48:49]
	v_fma_f64 v[50:51], v[52:53], s[14:15], v[50:51]
	;; [unrolled: 1-line block ×7, first 2 shown]
	v_add_f64 v[54:55], v[54:55], v[83:84]
	buffer_load_dword v81, off, s[28:31], 0 offset:176 ; 4-byte Folded Reload
	buffer_load_dword v82, off, s[28:31], 0 offset:180 ; 4-byte Folded Reload
	v_mul_f64 v[89:90], v[50:51], s[16:17]
	v_mul_f64 v[44:45], v[48:49], s[18:19]
	;; [unrolled: 1-line block ×7, first 2 shown]
	v_add_f64 v[0:1], v[56:57], v[46:47]
	v_fma_f64 v[89:90], v[2:3], s[24:25], v[89:90]
	v_add_f64 v[56:57], v[56:57], -v[46:47]
	v_fma_f64 v[99:100], v[87:88], s[22:23], v[83:84]
	v_fma_f64 v[91:92], v[109:110], s[20:21], v[52:53]
	v_mul_f64 v[52:53], v[62:63], s[20:21]
	v_fma_f64 v[62:63], v[85:86], s[14:15], v[44:45]
	v_fma_f64 v[103:104], v[85:86], s[8:9], v[48:49]
	;; [unrolled: 1-line block ×3, first 2 shown]
	v_add_f64 v[2:3], v[105:106], v[54:55]
	v_add_f64 v[83:84], v[111:112], v[89:90]
	;; [unrolled: 1-line block ×3, first 2 shown]
	v_fma_f64 v[101:102], v[109:110], s[12:13], v[52:53]
	v_fma_f64 v[109:110], v[87:88], s[8:9], v[58:59]
	v_add_f64 v[48:49], v[95:96], v[62:63]
	v_add_f64 v[52:53], v[97:98], v[99:100]
	v_add_f64 v[58:59], v[105:106], -v[54:55]
	v_add_f64 v[50:51], v[117:118], v[103:104]
	v_add_f64 v[85:86], v[60:61], v[113:114]
	v_add_f64 v[87:88], v[93:94], -v[91:92]
	;; [unrolled: 3-line block ×3, first 2 shown]
	v_add_f64 v[95:96], v[97:98], -v[99:100]
	v_add_f64 v[99:100], v[111:112], -v[89:90]
	;; [unrolled: 1-line block ×6, first 2 shown]
	s_waitcnt vmcnt(0)
	s_barrier
	ds_write_b128 v228, v[4:7]
	ds_write_b128 v228, v[8:11] offset:1024
	ds_write_b128 v228, v[12:15] offset:2048
	ds_write_b128 v228, v[16:19] offset:3072
	ds_write_b128 v228, v[28:31] offset:4096
	ds_write_b128 v228, v[20:23] offset:5120
	ds_write_b128 v228, v[24:27] offset:6144
	ds_write_b128 v228, v[32:35] offset:7168
	ds_write_b128 v228, v[36:39] offset:8192
	ds_write_b128 v228, v[40:43] offset:9216
	ds_write_b128 v230, v[0:3]
	ds_write_b128 v230, v[44:47] offset:1024
	ds_write_b128 v230, v[48:51] offset:2048
	;; [unrolled: 1-line block ×9, first 2 shown]
	s_waitcnt lgkmcnt(0)
	s_barrier
	ds_read_b128 v[0:3], v206 offset:10240
	ds_read_b128 v[4:7], v206
	ds_read_b128 v[8:11], v206 offset:2048
	ds_read_b128 v[12:15], v206 offset:20480
	;; [unrolled: 1-line block ×14, first 2 shown]
	s_waitcnt lgkmcnt(14)
	v_mul_f64 v[60:61], v[147:148], v[2:3]
	v_mul_f64 v[62:63], v[147:148], v[0:1]
	s_waitcnt lgkmcnt(12)
	v_mul_f64 v[103:104], v[151:152], v[14:15]
	v_mul_f64 v[105:106], v[151:152], v[12:13]
	ds_read_b128 v[87:90], v206 offset:30720
	ds_read_b128 v[91:94], v206 offset:28672
	;; [unrolled: 1-line block ×4, first 2 shown]
	s_waitcnt lgkmcnt(14)
	v_mul_f64 v[107:108], v[163:164], v[18:19]
	v_mul_f64 v[109:110], v[163:164], v[16:17]
	s_waitcnt lgkmcnt(12)
	v_mul_f64 v[111:112], v[159:160], v[30:31]
	v_fma_f64 v[0:1], v[145:146], v[0:1], v[60:61]
	v_fma_f64 v[2:3], v[145:146], v[2:3], -v[62:63]
	v_fma_f64 v[12:13], v[149:150], v[12:13], v[103:104]
	v_fma_f64 v[14:15], v[149:150], v[14:15], -v[105:106]
	s_waitcnt lgkmcnt(3)
	v_mul_f64 v[60:61], v[143:144], v[89:90]
	v_mul_f64 v[62:63], v[143:144], v[87:88]
	;; [unrolled: 1-line block ×5, first 2 shown]
	v_fma_f64 v[16:17], v[161:162], v[16:17], v[107:108]
	v_fma_f64 v[18:19], v[161:162], v[18:19], -v[109:110]
	v_mul_f64 v[107:108], v[175:176], v[34:35]
	v_fma_f64 v[60:61], v[141:142], v[87:88], v[60:61]
	v_fma_f64 v[62:63], v[141:142], v[89:90], -v[62:63]
	v_fma_f64 v[20:21], v[153:154], v[20:21], v[103:104]
	v_fma_f64 v[22:23], v[153:154], v[22:23], -v[105:106]
	v_mul_f64 v[87:88], v[167:168], v[26:27]
	v_mul_f64 v[89:90], v[167:168], v[24:25]
	;; [unrolled: 1-line block ×5, first 2 shown]
	v_fma_f64 v[28:29], v[157:158], v[28:29], v[111:112]
	v_fma_f64 v[30:31], v[157:158], v[30:31], -v[113:114]
	v_fma_f64 v[32:33], v[173:174], v[32:33], v[107:108]
	v_fma_f64 v[24:25], v[165:166], v[24:25], v[87:88]
	v_fma_f64 v[26:27], v[165:166], v[26:27], -v[89:90]
	v_fma_f64 v[44:45], v[169:170], v[44:45], v[103:104]
	v_fma_f64 v[46:47], v[169:170], v[46:47], -v[105:106]
	v_mul_f64 v[87:88], v[179:180], v[50:51]
	v_mul_f64 v[89:90], v[179:180], v[48:49]
	s_waitcnt lgkmcnt(1)
	v_mul_f64 v[103:104], v[187:188], v[97:98]
	v_mul_f64 v[105:106], v[187:188], v[95:96]
	v_fma_f64 v[34:35], v[173:174], v[34:35], -v[109:110]
	v_add_f64 v[107:108], v[4:5], -v[12:13]
	v_add_f64 v[109:110], v[6:7], -v[14:15]
	;; [unrolled: 1-line block ×4, first 2 shown]
	v_fma_f64 v[48:49], v[177:178], v[48:49], v[87:88]
	v_fma_f64 v[50:51], v[177:178], v[50:51], -v[89:90]
	v_fma_f64 v[60:61], v[185:186], v[95:96], v[103:104]
	v_fma_f64 v[62:63], v[185:186], v[97:98], -v[105:106]
	v_mul_f64 v[87:88], v[191:192], v[85:86]
	v_mul_f64 v[89:90], v[191:192], v[83:84]
	;; [unrolled: 1-line block ×6, first 2 shown]
	s_waitcnt lgkmcnt(0)
	v_mul_f64 v[103:104], v[199:200], v[101:102]
	v_mul_f64 v[105:106], v[199:200], v[99:100]
	v_fma_f64 v[83:84], v[189:190], v[83:84], v[87:88]
	v_fma_f64 v[85:86], v[189:190], v[85:86], -v[89:90]
	v_fma_f64 v[87:88], v[193:194], v[91:92], v[95:96]
	v_fma_f64 v[89:90], v[193:194], v[93:94], -v[97:98]
	v_add_f64 v[95:96], v[8:9], -v[16:17]
	v_add_f64 v[97:98], v[10:11], -v[18:19]
	;; [unrolled: 1-line block ×4, first 2 shown]
	v_fma_f64 v[56:57], v[181:182], v[56:57], v[111:112]
	v_fma_f64 v[58:59], v[181:182], v[58:59], -v[113:114]
	v_fma_f64 v[91:92], v[197:198], v[99:100], v[103:104]
	v_fma_f64 v[93:94], v[197:198], v[101:102], -v[105:106]
	v_add_f64 v[99:100], v[36:37], -v[44:45]
	v_add_f64 v[101:102], v[38:39], -v[46:47]
	;; [unrolled: 1-line block ×4, first 2 shown]
	v_fma_f64 v[20:21], v[20:21], 2.0, -v[18:19]
	v_fma_f64 v[22:23], v[22:23], 2.0, -v[16:17]
	v_add_f64 v[16:17], v[95:96], v[16:17]
	v_add_f64 v[18:19], v[97:98], -v[18:19]
	v_fma_f64 v[4:5], v[4:5], 2.0, -v[107:108]
	v_fma_f64 v[6:7], v[6:7], 2.0, -v[109:110]
	;; [unrolled: 1-line block ×10, first 2 shown]
	v_add_f64 v[8:9], v[107:108], v[14:15]
	v_add_f64 v[10:11], v[109:110], -v[12:13]
	v_fma_f64 v[32:33], v[95:96], 2.0, -v[16:17]
	v_fma_f64 v[34:35], v[97:98], 2.0, -v[18:19]
	v_add_f64 v[95:96], v[40:41], -v[48:49]
	v_add_f64 v[97:98], v[42:43], -v[50:51]
	;; [unrolled: 1-line block ×14, first 2 shown]
	v_fma_f64 v[24:25], v[107:108], 2.0, -v[8:9]
	v_fma_f64 v[26:27], v[109:110], 2.0, -v[10:11]
	;; [unrolled: 1-line block ×12, first 2 shown]
	v_add_f64 v[44:45], v[99:100], v[44:45]
	v_add_f64 v[46:47], v[101:102], -v[46:47]
	v_add_f64 v[48:49], v[91:92], -v[48:49]
	v_add_f64 v[50:51], v[93:94], -v[50:51]
	v_add_f64 v[52:53], v[95:96], v[62:63]
	v_add_f64 v[54:55], v[97:98], -v[60:61]
	v_add_f64 v[56:57], v[107:108], -v[56:57]
	;; [unrolled: 1-line block ×3, first 2 shown]
	v_add_f64 v[83:84], v[103:104], v[89:90]
	v_add_f64 v[85:86], v[105:106], -v[87:88]
	v_fma_f64 v[28:29], v[28:29], 2.0, -v[12:13]
	v_fma_f64 v[30:31], v[30:31], 2.0, -v[14:15]
	v_mov_b32_e32 v64, v81
	v_mad_u64_u32 v[81:82], s[6:7], s2, v64, 0
	v_fma_f64 v[36:37], v[36:37], 2.0, -v[20:21]
	v_fma_f64 v[38:39], v[38:39], 2.0, -v[22:23]
	v_fma_f64 v[40:41], v[99:100], 2.0, -v[44:45]
	v_fma_f64 v[42:43], v[101:102], 2.0, -v[46:47]
	v_fma_f64 v[87:88], v[91:92], 2.0, -v[48:49]
	v_fma_f64 v[89:90], v[93:94], 2.0, -v[50:51]
	v_fma_f64 v[91:92], v[95:96], 2.0, -v[52:53]
	v_fma_f64 v[93:94], v[97:98], 2.0, -v[54:55]
	v_fma_f64 v[95:96], v[107:108], 2.0, -v[56:57]
	v_fma_f64 v[97:98], v[109:110], 2.0, -v[58:59]
	v_fma_f64 v[99:100], v[103:104], 2.0, -v[83:84]
	v_fma_f64 v[101:102], v[105:106], 2.0, -v[85:86]
	ds_write_b128 v206, v[4:7]
	ds_write_b128 v206, v[24:27] offset:10240
	ds_write_b128 v206, v[0:3] offset:20480
	;; [unrolled: 1-line block ×19, first 2 shown]
	s_waitcnt lgkmcnt(0)
	s_barrier
	ds_read_b128 v[0:3], v206
	v_mov_b32_e32 v4, v82
	v_mad_u64_u32 v[10:11], s[2:3], s3, v64, v[4:5]
	ds_read_b128 v[4:7], v206 offset:2048
	s_waitcnt lgkmcnt(1)
	v_mul_f64 v[8:9], v[221:222], v[2:3]
	v_mul_f64 v[11:12], v[221:222], v[0:1]
	v_mad_u64_u32 v[16:17], s[2:3], s0, v254, 0
	v_mov_b32_e32 v82, v10
	s_mov_b32 s2, 0x9999999a
	v_lshlrev_b64 v[18:19], 4, v[81:82]
	s_mov_b32 s3, 0x3f399999
	v_fma_f64 v[0:1], v[219:220], v[0:1], v[8:9]
	v_mov_b32_e32 v8, v17
	v_fma_f64 v[2:3], v[219:220], v[2:3], -v[11:12]
	v_mad_u64_u32 v[12:13], s[6:7], s1, v254, v[8:9]
	ds_read_b128 v[8:11], v206 offset:10240
	v_mov_b32_e32 v24, s5
	v_mov_b32_e32 v17, v12
	ds_read_b128 v[12:15], v206 offset:8192
	buffer_load_dword v27, off, s[28:31], 0 offset:160 ; 4-byte Folded Reload
	buffer_load_dword v28, off, s[28:31], 0 offset:164 ; 4-byte Folded Reload
	;; [unrolled: 1-line block ×4, first 2 shown]
	v_mul_f64 v[0:1], v[0:1], s[2:3]
	v_mul_f64 v[2:3], v[2:3], s[2:3]
	v_add_co_u32_e32 v25, vcc, s4, v18
	v_addc_co_u32_e32 v26, vcc, v24, v19, vcc
	v_lshlrev_b64 v[16:17], 4, v[16:17]
	s_mul_i32 s4, s1, 0x2800
	v_add_co_u32_e32 v24, vcc, v25, v16
	v_addc_co_u32_e32 v25, vcc, v26, v17, vcc
	global_store_dwordx4 v[24:25], v[0:3], off
	s_mul_hi_u32 s5, s0, 0x2800
	s_add_i32 s4, s5, s4
	s_mul_i32 s5, s0, 0x2800
	v_mov_b32_e32 v34, s4
	v_add_co_u32_e32 v24, vcc, s5, v24
	v_addc_co_u32_e32 v25, vcc, v25, v34, vcc
	s_mul_hi_u32 s6, s0, 0xffff9000
	s_mulk_i32 s1, 0x9000
	s_sub_i32 s6, s6, s0
	s_add_i32 s1, s6, s1
	s_mulk_i32 s0, 0x9000
	s_waitcnt vmcnt(1) lgkmcnt(1)
	v_mul_f64 v[20:21], v[29:30], v[10:11]
	v_mul_f64 v[22:23], v[29:30], v[8:9]
	v_fma_f64 v[18:19], v[27:28], v[8:9], v[20:21]
	v_fma_f64 v[20:21], v[27:28], v[10:11], -v[22:23]
	ds_read_b128 v[8:11], v206 offset:20480
	v_mul_f64 v[0:1], v[18:19], s[2:3]
	ds_read_b128 v[16:19], v206 offset:22528
	buffer_load_dword v30, off, s[28:31], 0 offset:144 ; 4-byte Folded Reload
	buffer_load_dword v31, off, s[28:31], 0 offset:148 ; 4-byte Folded Reload
	;; [unrolled: 1-line block ×4, first 2 shown]
	v_mul_f64 v[2:3], v[20:21], s[2:3]
	ds_read_b128 v[20:23], v206 offset:30720
	s_waitcnt vmcnt(0) lgkmcnt(2)
	v_mul_f64 v[26:27], v[32:33], v[10:11]
	v_mul_f64 v[28:29], v[32:33], v[8:9]
	v_fma_f64 v[26:27], v[30:31], v[8:9], v[26:27]
	v_fma_f64 v[28:29], v[30:31], v[10:11], -v[28:29]
	ds_read_b128 v[8:11], v206 offset:28672
	buffer_load_dword v35, off, s[28:31], 0 offset:112 ; 4-byte Folded Reload
	buffer_load_dword v36, off, s[28:31], 0 offset:116 ; 4-byte Folded Reload
	;; [unrolled: 1-line block ×4, first 2 shown]
	s_waitcnt vmcnt(0) lgkmcnt(1)
	v_mul_f64 v[30:31], v[37:38], v[22:23]
	v_mul_f64 v[32:33], v[37:38], v[20:21]
	global_store_dwordx4 v[24:25], v[0:3], off
	v_add_co_u32_e32 v24, vcc, s5, v24
	v_mul_f64 v[0:1], v[26:27], s[2:3]
	v_mul_f64 v[2:3], v[28:29], s[2:3]
	v_addc_co_u32_e32 v25, vcc, v25, v34, vcc
	v_fma_f64 v[20:21], v[35:36], v[20:21], v[30:31]
	v_fma_f64 v[22:23], v[35:36], v[22:23], -v[32:33]
	buffer_load_dword v35, off, s[28:31], 0 offset:128 ; 4-byte Folded Reload
	buffer_load_dword v36, off, s[28:31], 0 offset:132 ; 4-byte Folded Reload
	;; [unrolled: 1-line block ×4, first 2 shown]
	v_mov_b32_e32 v30, s4
	global_store_dwordx4 v[24:25], v[0:3], off
	v_add_co_u32_e32 v24, vcc, s5, v24
	v_mul_f64 v[0:1], v[20:21], s[2:3]
	v_mul_f64 v[2:3], v[22:23], s[2:3]
	v_addc_co_u32_e32 v25, vcc, v25, v30, vcc
	v_mov_b32_e32 v30, s1
	global_store_dwordx4 v[24:25], v[0:3], off
	v_add_co_u32_e32 v24, vcc, s0, v24
	v_addc_co_u32_e32 v25, vcc, v25, v30, vcc
	s_waitcnt vmcnt(2)
	v_mul_f64 v[26:27], v[37:38], v[6:7]
	v_mul_f64 v[28:29], v[37:38], v[4:5]
	v_fma_f64 v[20:21], v[35:36], v[4:5], v[26:27]
	v_fma_f64 v[22:23], v[35:36], v[6:7], -v[28:29]
	ds_read_b128 v[4:7], v206 offset:12288
	v_mov_b32_e32 v35, s4
	v_mul_f64 v[0:1], v[20:21], s[2:3]
	v_mul_f64 v[2:3], v[22:23], s[2:3]
	ds_read_b128 v[20:23], v206 offset:14336
	buffer_load_dword v31, off, s[28:31], 0 offset:96 ; 4-byte Folded Reload
	buffer_load_dword v32, off, s[28:31], 0 offset:100 ; 4-byte Folded Reload
	;; [unrolled: 1-line block ×4, first 2 shown]
	s_waitcnt vmcnt(0) lgkmcnt(1)
	v_mul_f64 v[26:27], v[33:34], v[6:7]
	v_mul_f64 v[28:29], v[33:34], v[4:5]
	v_fma_f64 v[4:5], v[31:32], v[4:5], v[26:27]
	v_fma_f64 v[6:7], v[31:32], v[6:7], -v[28:29]
	buffer_load_dword v31, off, s[28:31], 0 offset:80 ; 4-byte Folded Reload
	buffer_load_dword v32, off, s[28:31], 0 offset:84 ; 4-byte Folded Reload
	;; [unrolled: 1-line block ×4, first 2 shown]
	s_waitcnt vmcnt(0)
	v_mul_f64 v[26:27], v[33:34], v[18:19]
	v_mul_f64 v[28:29], v[33:34], v[16:17]
	global_store_dwordx4 v[24:25], v[0:3], off
	v_add_co_u32_e32 v34, vcc, s5, v24
	v_mul_f64 v[0:1], v[4:5], s[2:3]
	v_mul_f64 v[2:3], v[6:7], s[2:3]
	ds_read_b128 v[4:7], v206 offset:32768
	v_fma_f64 v[26:27], v[31:32], v[16:17], v[26:27]
	v_fma_f64 v[28:29], v[31:32], v[18:19], -v[28:29]
	ds_read_b128 v[16:19], v206 offset:34816
	buffer_load_dword v36, off, s[28:31], 0 offset:64 ; 4-byte Folded Reload
	buffer_load_dword v37, off, s[28:31], 0 offset:68 ; 4-byte Folded Reload
	;; [unrolled: 1-line block ×4, first 2 shown]
	v_addc_co_u32_e32 v35, vcc, v25, v35, vcc
	global_store_dwordx4 v[34:35], v[0:3], off
	v_add_co_u32_e32 v34, vcc, s5, v34
	v_mul_f64 v[0:1], v[26:27], s[2:3]
	v_mul_f64 v[2:3], v[28:29], s[2:3]
	ds_read_b128 v[24:27], v206 offset:4096
	s_waitcnt vmcnt(1) lgkmcnt(2)
	v_mul_f64 v[30:31], v[38:39], v[6:7]
	v_mul_f64 v[32:33], v[38:39], v[4:5]
	v_mov_b32_e32 v38, s4
	v_addc_co_u32_e32 v35, vcc, v35, v38, vcc
	v_fma_f64 v[28:29], v[36:37], v[4:5], v[30:31]
	v_fma_f64 v[30:31], v[36:37], v[6:7], -v[32:33]
	ds_read_b128 v[4:7], v206 offset:6144
	buffer_load_dword v39, off, s[28:31], 0 offset:48 ; 4-byte Folded Reload
	buffer_load_dword v40, off, s[28:31], 0 offset:52 ; 4-byte Folded Reload
	;; [unrolled: 1-line block ×4, first 2 shown]
	s_waitcnt vmcnt(0) lgkmcnt(1)
	v_mul_f64 v[32:33], v[41:42], v[26:27]
	v_mul_f64 v[36:37], v[41:42], v[24:25]
	global_store_dwordx4 v[34:35], v[0:3], off
	v_fma_f64 v[24:25], v[39:40], v[24:25], v[32:33]
	v_fma_f64 v[26:27], v[39:40], v[26:27], -v[36:37]
	buffer_load_dword v39, off, s[28:31], 0 offset:32 ; 4-byte Folded Reload
	buffer_load_dword v40, off, s[28:31], 0 offset:36 ; 4-byte Folded Reload
	;; [unrolled: 1-line block ×4, first 2 shown]
	v_mul_f64 v[0:1], v[28:29], s[2:3]
	v_mul_f64 v[2:3], v[30:31], s[2:3]
	v_add_co_u32_e32 v32, vcc, s5, v34
	v_addc_co_u32_e32 v33, vcc, v35, v38, vcc
	v_mov_b32_e32 v38, s1
	global_store_dwordx4 v[32:33], v[0:3], off
	s_nop 0
	v_mul_f64 v[0:1], v[24:25], s[2:3]
	v_mul_f64 v[2:3], v[26:27], s[2:3]
	ds_read_b128 v[24:27], v206 offset:24576
	v_add_co_u32_e32 v32, vcc, s0, v32
	v_addc_co_u32_e32 v33, vcc, v33, v38, vcc
	v_mov_b32_e32 v38, s4
	s_waitcnt vmcnt(1)
	v_mul_f64 v[28:29], v[41:42], v[22:23]
	v_mul_f64 v[30:31], v[41:42], v[20:21]
	v_fma_f64 v[28:29], v[39:40], v[20:21], v[28:29]
	v_fma_f64 v[30:31], v[39:40], v[22:23], -v[30:31]
	ds_read_b128 v[20:23], v206 offset:26624
	buffer_load_dword v39, off, s[28:31], 0 offset:16 ; 4-byte Folded Reload
	buffer_load_dword v40, off, s[28:31], 0 offset:20 ; 4-byte Folded Reload
	;; [unrolled: 1-line block ×4, first 2 shown]
	s_waitcnt vmcnt(0) lgkmcnt(1)
	v_mul_f64 v[34:35], v[41:42], v[26:27]
	v_mul_f64 v[36:37], v[41:42], v[24:25]
	global_store_dwordx4 v[32:33], v[0:3], off
	v_add_co_u32_e32 v32, vcc, s5, v32
	v_mul_f64 v[0:1], v[28:29], s[2:3]
	v_mul_f64 v[2:3], v[30:31], s[2:3]
	v_addc_co_u32_e32 v33, vcc, v33, v38, vcc
	v_fma_f64 v[24:25], v[39:40], v[24:25], v[34:35]
	v_fma_f64 v[26:27], v[39:40], v[26:27], -v[36:37]
	buffer_load_dword v39, off, s[28:31], 0 ; 4-byte Folded Reload
	buffer_load_dword v40, off, s[28:31], 0 offset:4 ; 4-byte Folded Reload
	buffer_load_dword v41, off, s[28:31], 0 offset:8 ; 4-byte Folded Reload
	;; [unrolled: 1-line block ×3, first 2 shown]
	v_mov_b32_e32 v34, s4
	global_store_dwordx4 v[32:33], v[0:3], off
	s_nop 0
	v_mul_f64 v[0:1], v[24:25], s[2:3]
	v_mul_f64 v[2:3], v[26:27], s[2:3]
	;; [unrolled: 1-line block ×4, first 2 shown]
	v_fma_f64 v[24:25], v[231:232], v[4:5], v[24:25]
	v_fma_f64 v[26:27], v[231:232], v[6:7], -v[26:27]
	ds_read_b128 v[4:7], v206 offset:18432
	s_waitcnt vmcnt(1)
	v_mul_f64 v[28:29], v[41:42], v[18:19]
	v_mul_f64 v[30:31], v[41:42], v[16:17]
	v_fma_f64 v[16:17], v[39:40], v[16:17], v[28:29]
	v_fma_f64 v[18:19], v[39:40], v[18:19], -v[30:31]
	v_add_co_u32_e32 v28, vcc, s5, v32
	v_addc_co_u32_e32 v29, vcc, v33, v34, vcc
	global_store_dwordx4 v[28:29], v[0:3], off
	v_add_co_u32_e32 v28, vcc, s5, v28
	v_mul_f64 v[0:1], v[16:17], s[2:3]
	v_mul_f64 v[2:3], v[18:19], s[2:3]
	ds_read_b128 v[16:19], v206 offset:16384
	v_addc_co_u32_e32 v29, vcc, v29, v34, vcc
	v_mov_b32_e32 v34, s1
	s_waitcnt lgkmcnt(0)
	v_mul_f64 v[30:31], v[226:227], v[18:19]
	v_mul_f64 v[32:33], v[226:227], v[16:17]
	global_store_dwordx4 v[28:29], v[0:3], off
	v_add_co_u32_e32 v28, vcc, s0, v28
	v_mul_f64 v[0:1], v[24:25], s[2:3]
	v_mul_f64 v[2:3], v[26:27], s[2:3]
	;; [unrolled: 1-line block ×3, first 2 shown]
	v_fma_f64 v[16:17], v[224:225], v[16:17], v[30:31]
	v_fma_f64 v[18:19], v[224:225], v[18:19], -v[32:33]
	v_mul_f64 v[26:27], v[213:214], v[20:21]
	v_addc_co_u32_e32 v29, vcc, v29, v34, vcc
	v_mov_b32_e32 v34, s4
	global_store_dwordx4 v[28:29], v[0:3], off
	v_fma_f64 v[24:25], v[211:212], v[20:21], v[24:25]
	v_mul_f64 v[0:1], v[16:17], s[2:3]
	v_mul_f64 v[2:3], v[18:19], s[2:3]
	ds_read_b128 v[16:19], v206 offset:36864
	v_fma_f64 v[26:27], v[211:212], v[22:23], -v[26:27]
	ds_read_b128 v[20:23], v206 offset:38912
	v_add_co_u32_e32 v28, vcc, s5, v28
	s_waitcnt lgkmcnt(1)
	v_mul_f64 v[30:31], v[217:218], v[18:19]
	v_mul_f64 v[32:33], v[217:218], v[16:17]
	v_addc_co_u32_e32 v29, vcc, v29, v34, vcc
	global_store_dwordx4 v[28:29], v[0:3], off
	v_add_co_u32_e32 v28, vcc, s5, v28
	v_mul_f64 v[0:1], v[24:25], s[2:3]
	v_mul_f64 v[2:3], v[26:27], s[2:3]
	v_fma_f64 v[16:17], v[215:216], v[16:17], v[30:31]
	v_fma_f64 v[18:19], v[215:216], v[18:19], -v[32:33]
	v_mul_f64 v[24:25], v[67:68], v[14:15]
	v_mul_f64 v[26:27], v[67:68], v[12:13]
	v_addc_co_u32_e32 v29, vcc, v29, v34, vcc
	v_mov_b32_e32 v30, s4
	global_store_dwordx4 v[28:29], v[0:3], off
	v_fma_f64 v[12:13], v[65:66], v[12:13], v[24:25]
	v_mul_f64 v[0:1], v[16:17], s[2:3]
	v_mul_f64 v[2:3], v[18:19], s[2:3]
	v_fma_f64 v[14:15], v[65:66], v[14:15], -v[26:27]
	v_mul_f64 v[16:17], v[71:72], v[6:7]
	v_mul_f64 v[18:19], v[71:72], v[4:5]
	v_add_co_u32_e32 v24, vcc, s5, v28
	v_addc_co_u32_e32 v25, vcc, v29, v30, vcc
	global_store_dwordx4 v[24:25], v[0:3], off
	v_mov_b32_e32 v26, s4
	v_mul_f64 v[0:1], v[12:13], s[2:3]
	v_mul_f64 v[2:3], v[14:15], s[2:3]
	v_fma_f64 v[4:5], v[69:70], v[4:5], v[16:17]
	v_fma_f64 v[6:7], v[69:70], v[6:7], -v[18:19]
	v_mul_f64 v[14:15], v[75:76], v[10:11]
	v_mul_f64 v[16:17], v[75:76], v[8:9]
	v_mov_b32_e32 v13, s1
	v_add_co_u32_e32 v12, vcc, s0, v24
	v_addc_co_u32_e32 v13, vcc, v25, v13, vcc
	s_waitcnt lgkmcnt(0)
	v_mul_f64 v[18:19], v[79:80], v[22:23]
	v_mul_f64 v[24:25], v[79:80], v[20:21]
	global_store_dwordx4 v[12:13], v[0:3], off
	v_add_co_u32_e32 v12, vcc, s5, v12
	v_mul_f64 v[0:1], v[4:5], s[2:3]
	v_mul_f64 v[2:3], v[6:7], s[2:3]
	v_fma_f64 v[4:5], v[73:74], v[8:9], v[14:15]
	v_fma_f64 v[6:7], v[73:74], v[10:11], -v[16:17]
	v_fma_f64 v[8:9], v[77:78], v[20:21], v[18:19]
	v_fma_f64 v[10:11], v[77:78], v[22:23], -v[24:25]
	v_addc_co_u32_e32 v13, vcc, v13, v26, vcc
	v_mov_b32_e32 v14, s4
	global_store_dwordx4 v[12:13], v[0:3], off
	s_nop 0
	v_mul_f64 v[0:1], v[4:5], s[2:3]
	v_mul_f64 v[2:3], v[6:7], s[2:3]
	;; [unrolled: 1-line block ×4, first 2 shown]
	v_add_co_u32_e32 v8, vcc, s5, v12
	v_addc_co_u32_e32 v9, vcc, v13, v14, vcc
	global_store_dwordx4 v[8:9], v[0:3], off
	s_nop 0
	v_mov_b32_e32 v1, s4
	v_add_co_u32_e32 v0, vcc, s5, v8
	v_addc_co_u32_e32 v1, vcc, v9, v1, vcc
	global_store_dwordx4 v[0:1], v[4:7], off
.LBB0_2:
	s_endpgm
	.section	.rodata,"a",@progbits
	.p2align	6, 0x0
	.amdhsa_kernel bluestein_single_fwd_len2560_dim1_dp_op_CI_CI
		.amdhsa_group_segment_fixed_size 40960
		.amdhsa_private_segment_fixed_size 232
		.amdhsa_kernarg_size 104
		.amdhsa_user_sgpr_count 6
		.amdhsa_user_sgpr_private_segment_buffer 1
		.amdhsa_user_sgpr_dispatch_ptr 0
		.amdhsa_user_sgpr_queue_ptr 0
		.amdhsa_user_sgpr_kernarg_segment_ptr 1
		.amdhsa_user_sgpr_dispatch_id 0
		.amdhsa_user_sgpr_flat_scratch_init 0
		.amdhsa_user_sgpr_private_segment_size 0
		.amdhsa_uses_dynamic_stack 0
		.amdhsa_system_sgpr_private_segment_wavefront_offset 1
		.amdhsa_system_sgpr_workgroup_id_x 1
		.amdhsa_system_sgpr_workgroup_id_y 0
		.amdhsa_system_sgpr_workgroup_id_z 0
		.amdhsa_system_sgpr_workgroup_info 0
		.amdhsa_system_vgpr_workitem_id 0
		.amdhsa_next_free_vgpr 256
		.amdhsa_next_free_sgpr 32
		.amdhsa_reserve_vcc 1
		.amdhsa_reserve_flat_scratch 0
		.amdhsa_float_round_mode_32 0
		.amdhsa_float_round_mode_16_64 0
		.amdhsa_float_denorm_mode_32 3
		.amdhsa_float_denorm_mode_16_64 3
		.amdhsa_dx10_clamp 1
		.amdhsa_ieee_mode 1
		.amdhsa_fp16_overflow 0
		.amdhsa_exception_fp_ieee_invalid_op 0
		.amdhsa_exception_fp_denorm_src 0
		.amdhsa_exception_fp_ieee_div_zero 0
		.amdhsa_exception_fp_ieee_overflow 0
		.amdhsa_exception_fp_ieee_underflow 0
		.amdhsa_exception_fp_ieee_inexact 0
		.amdhsa_exception_int_div_zero 0
	.end_amdhsa_kernel
	.text
.Lfunc_end0:
	.size	bluestein_single_fwd_len2560_dim1_dp_op_CI_CI, .Lfunc_end0-bluestein_single_fwd_len2560_dim1_dp_op_CI_CI
                                        ; -- End function
	.section	.AMDGPU.csdata,"",@progbits
; Kernel info:
; codeLenInByte = 24212
; NumSgprs: 36
; NumVgprs: 256
; ScratchSize: 232
; MemoryBound: 0
; FloatMode: 240
; IeeeMode: 1
; LDSByteSize: 40960 bytes/workgroup (compile time only)
; SGPRBlocks: 4
; VGPRBlocks: 63
; NumSGPRsForWavesPerEU: 36
; NumVGPRsForWavesPerEU: 256
; Occupancy: 1
; WaveLimiterHint : 1
; COMPUTE_PGM_RSRC2:SCRATCH_EN: 1
; COMPUTE_PGM_RSRC2:USER_SGPR: 6
; COMPUTE_PGM_RSRC2:TRAP_HANDLER: 0
; COMPUTE_PGM_RSRC2:TGID_X_EN: 1
; COMPUTE_PGM_RSRC2:TGID_Y_EN: 0
; COMPUTE_PGM_RSRC2:TGID_Z_EN: 0
; COMPUTE_PGM_RSRC2:TIDIG_COMP_CNT: 0
	.type	__hip_cuid_26ac8061e34477b6,@object ; @__hip_cuid_26ac8061e34477b6
	.section	.bss,"aw",@nobits
	.globl	__hip_cuid_26ac8061e34477b6
__hip_cuid_26ac8061e34477b6:
	.byte	0                               ; 0x0
	.size	__hip_cuid_26ac8061e34477b6, 1

	.ident	"AMD clang version 19.0.0git (https://github.com/RadeonOpenCompute/llvm-project roc-6.4.0 25133 c7fe45cf4b819c5991fe208aaa96edf142730f1d)"
	.section	".note.GNU-stack","",@progbits
	.addrsig
	.addrsig_sym __hip_cuid_26ac8061e34477b6
	.amdgpu_metadata
---
amdhsa.kernels:
  - .args:
      - .actual_access:  read_only
        .address_space:  global
        .offset:         0
        .size:           8
        .value_kind:     global_buffer
      - .actual_access:  read_only
        .address_space:  global
        .offset:         8
        .size:           8
        .value_kind:     global_buffer
      - .actual_access:  read_only
        .address_space:  global
        .offset:         16
        .size:           8
        .value_kind:     global_buffer
      - .actual_access:  read_only
        .address_space:  global
        .offset:         24
        .size:           8
        .value_kind:     global_buffer
      - .actual_access:  read_only
        .address_space:  global
        .offset:         32
        .size:           8
        .value_kind:     global_buffer
      - .offset:         40
        .size:           8
        .value_kind:     by_value
      - .address_space:  global
        .offset:         48
        .size:           8
        .value_kind:     global_buffer
      - .address_space:  global
        .offset:         56
        .size:           8
        .value_kind:     global_buffer
      - .address_space:  global
        .offset:         64
        .size:           8
        .value_kind:     global_buffer
      - .address_space:  global
        .offset:         72
        .size:           8
        .value_kind:     global_buffer
      - .offset:         80
        .size:           4
        .value_kind:     by_value
      - .address_space:  global
        .offset:         88
        .size:           8
        .value_kind:     global_buffer
      - .address_space:  global
        .offset:         96
        .size:           8
        .value_kind:     global_buffer
    .group_segment_fixed_size: 40960
    .kernarg_segment_align: 8
    .kernarg_segment_size: 104
    .language:       OpenCL C
    .language_version:
      - 2
      - 0
    .max_flat_workgroup_size: 128
    .name:           bluestein_single_fwd_len2560_dim1_dp_op_CI_CI
    .private_segment_fixed_size: 232
    .sgpr_count:     36
    .sgpr_spill_count: 0
    .symbol:         bluestein_single_fwd_len2560_dim1_dp_op_CI_CI.kd
    .uniform_work_group_size: 1
    .uses_dynamic_stack: false
    .vgpr_count:     256
    .vgpr_spill_count: 57
    .wavefront_size: 64
amdhsa.target:   amdgcn-amd-amdhsa--gfx906
amdhsa.version:
  - 1
  - 2
...

	.end_amdgpu_metadata
